;; amdgpu-corpus repo=ROCm/rocFFT kind=compiled arch=gfx1201 opt=O3
	.text
	.amdgcn_target "amdgcn-amd-amdhsa--gfx1201"
	.amdhsa_code_object_version 6
	.protected	bluestein_single_fwd_len784_dim1_dp_op_CI_CI ; -- Begin function bluestein_single_fwd_len784_dim1_dp_op_CI_CI
	.globl	bluestein_single_fwd_len784_dim1_dp_op_CI_CI
	.p2align	8
	.type	bluestein_single_fwd_len784_dim1_dp_op_CI_CI,@function
bluestein_single_fwd_len784_dim1_dp_op_CI_CI: ; @bluestein_single_fwd_len784_dim1_dp_op_CI_CI
; %bb.0:
	s_load_b128 s[16:19], s[0:1], 0x28
	v_mul_u32_u24_e32 v1, 0x493, v0
	s_mov_b32 s2, exec_lo
	v_mov_b32_e32 v3, 0
	s_delay_alu instid0(VALU_DEP_2) | instskip(NEXT) | instid1(VALU_DEP_1)
	v_lshrrev_b32_e32 v1, 16, v1
	v_add_nc_u32_e32 v2, ttmp9, v1
	s_wait_kmcnt 0x0
	s_delay_alu instid0(VALU_DEP_1)
	v_cmpx_gt_u64_e64 s[16:17], v[2:3]
	s_cbranch_execz .LBB0_2
; %bb.1:
	s_clause 0x1
	s_load_b128 s[4:7], s[0:1], 0x18
	s_load_b128 s[8:11], s[0:1], 0x0
	v_mul_lo_u16 v1, v1, 56
	s_movk_i32 s2, 0xeb00
	s_mov_b32 s3, -1
	s_mov_b32 s23, 0xbfe11646
	s_mov_b32 s22, 0xe976ee23
	v_sub_nc_u16 v0, v0, v1
	s_mov_b32 s16, 0x429ad128
	s_mov_b32 s28, 0x37e14327
	;; [unrolled: 1-line block ×3, first 2 shown]
	s_delay_alu instid0(VALU_DEP_1)
	v_dual_mov_b32 v4, v2 :: v_dual_and_b32 v165, 0xffff, v0
	s_mov_b32 s29, 0x3fe948f6
	s_mov_b32 s20, 0x5476071b
	;; [unrolled: 1-line block ×3, first 2 shown]
	scratch_store_b64 off, v[4:5], off      ; 8-byte Folded Spill
	v_lshlrev_b32_e32 v167, 4, v165
	s_mov_b32 s21, 0x3fe77f67
	s_mov_b32 s25, 0x3fdc38aa
	s_wait_kmcnt 0x0
	s_load_b128 s[12:15], s[4:5], 0x0
	s_mov_b32 s24, 0x37c3f68c
	s_mov_b32 s31, 0xbfe77f67
	;; [unrolled: 1-line block ×6, first 2 shown]
	s_load_b64 s[0:1], s[0:1], 0x38
	v_lshlrev_b32_e32 v164, 5, v165
	v_add_nc_u32_e32 v120, 56, v165
	s_wait_kmcnt 0x0
	v_mad_co_u64_u32 v[0:1], null, s14, v2, 0
	v_mad_co_u64_u32 v[2:3], null, s12, v165, 0
	s_mul_u64 s[4:5], s[12:13], 0x1880
	s_delay_alu instid0(VALU_DEP_1) | instskip(SKIP_1) | instid1(VALU_DEP_1)
	v_mad_co_u64_u32 v[4:5], null, s15, v4, v[1:2]
	s_mul_u64 s[14:15], s[12:13], s[2:3]
	v_mad_co_u64_u32 v[5:6], null, s13, v165, v[3:4]
	v_mov_b32_e32 v1, v4
	v_or_b32_e32 v4, 0x1c0, v165
	s_delay_alu instid0(VALU_DEP_2) | instskip(NEXT) | instid1(VALU_DEP_4)
	v_lshlrev_b64_e32 v[0:1], 4, v[0:1]
	v_mov_b32_e32 v3, v5
	s_delay_alu instid0(VALU_DEP_1) | instskip(NEXT) | instid1(VALU_DEP_3)
	v_lshlrev_b64_e32 v[2:3], 4, v[2:3]
	v_add_co_u32 v5, vcc_lo, s18, v0
	s_delay_alu instid0(VALU_DEP_4) | instskip(SKIP_1) | instid1(VALU_DEP_2)
	v_add_co_ci_u32_e32 v6, vcc_lo, s19, v1, vcc_lo
	s_mov_b32 s18, 0xaaaaaaaa
	v_add_co_u32 v0, vcc_lo, v5, v2
	s_wait_alu 0xfffd
	s_delay_alu instid0(VALU_DEP_2)
	v_add_co_ci_u32_e32 v1, vcc_lo, v6, v3, vcc_lo
	global_load_b128 v[8:11], v167, s[8:9]
	global_load_b128 v[16:19], v[0:1], off
	v_mad_co_u64_u32 v[2:3], null, s12, v4, 0
	scratch_store_b32 off, v4, off offset:8 ; 4-byte Folded Spill
	s_mov_b32 s19, 0xbff2aaaa
	v_mad_co_u64_u32 v[3:4], null, s13, v4, v[3:4]
	s_delay_alu instid0(VALU_DEP_1) | instskip(NEXT) | instid1(VALU_DEP_1)
	v_lshlrev_b64_e32 v[2:3], 4, v[2:3]
	v_add_co_u32 v2, vcc_lo, v5, v2
	s_wait_alu 0xfffd
	s_delay_alu instid0(VALU_DEP_2)
	v_add_co_ci_u32_e32 v3, vcc_lo, v6, v3, vcc_lo
	global_load_b128 v[12:15], v167, s[8:9] offset:7168
	global_load_b128 v[20:23], v[2:3], off
	v_add_co_u32 v0, vcc_lo, v0, s4
	s_wait_alu 0xfffd
	v_add_co_ci_u32_e32 v1, vcc_lo, s5, v1, vcc_lo
	s_clause 0x1
	global_load_b128 v[36:39], v167, s[8:9] offset:896
	global_load_b128 v[40:43], v167, s[8:9] offset:8064
	s_wait_alu 0xfffe
	v_add_co_u32 v6, vcc_lo, v0, s14
	s_wait_alu 0xfffd
	v_add_co_ci_u32_e32 v7, vcc_lo, s15, v1, vcc_lo
	s_wait_loadcnt 0x5
	v_mov_b32_e32 v27, v11
	s_wait_loadcnt 0x4
	v_mul_f64_e32 v[2:3], v[18:19], v[10:11]
	v_mul_f64_e32 v[4:5], v[16:17], v[10:11]
	v_dual_mov_b32 v26, v10 :: v_dual_mov_b32 v25, v9
	v_mov_b32_e32 v24, v8
	v_mad_co_u64_u32 v[8:9], null, 0x380, s12, v[6:7]
	scratch_store_b128 off, v[24:27], off offset:28 ; 16-byte Folded Spill
	v_mad_co_u64_u32 v[9:10], null, 0x380, s13, v[9:10]
	v_add_co_u32 v10, vcc_lo, v8, s4
	s_mov_b32 s12, 0x36b3c0b5
	s_mov_b32 s13, 0x3fac98ee
	s_wait_alu 0xfffd
	s_delay_alu instid0(VALU_DEP_2)
	v_add_co_ci_u32_e32 v11, vcc_lo, s5, v9, vcc_lo
	global_load_b128 v[28:31], v[10:11], off
	s_wait_loadcnt 0x4
	scratch_store_b128 off, v[12:15], off offset:12 ; 16-byte Folded Spill
	v_fma_f64 v[56:57], v[16:17], v[24:25], v[2:3]
	v_fma_f64 v[58:59], v[18:19], v[24:25], -v[4:5]
	s_clause 0x1
	global_load_b128 v[24:27], v[0:1], off
	global_load_b128 v[32:35], v[6:7], off
	s_clause 0x1
	global_load_b128 v[193:196], v167, s[8:9] offset:6272
	global_load_b128 v[189:192], v167, s[8:9] offset:5376
	s_wait_loadcnt 0x7
	v_mul_f64_e32 v[2:3], v[22:23], v[14:15]
	s_wait_loadcnt 0x6
	scratch_store_b128 off, v[36:39], off offset:60 ; 16-byte Folded Spill
	v_mul_f64_e32 v[4:5], v[20:21], v[14:15]
	v_fma_f64 v[60:61], v[20:21], v[12:13], v[2:3]
	s_delay_alu instid0(VALU_DEP_2) | instskip(SKIP_3) | instid1(VALU_DEP_2)
	v_fma_f64 v[62:63], v[22:23], v[12:13], -v[4:5]
	s_wait_loadcnt 0x1
	v_mul_f64_e32 v[0:1], v[26:27], v[195:196]
	v_mul_f64_e32 v[2:3], v[24:25], v[195:196]
	v_fma_f64 v[64:65], v[24:25], v[193:194], v[0:1]
	s_delay_alu instid0(VALU_DEP_2) | instskip(SKIP_2) | instid1(VALU_DEP_2)
	v_fma_f64 v[66:67], v[26:27], v[193:194], -v[2:3]
	v_mul_f64_e32 v[0:1], v[34:35], v[38:39]
	v_mul_f64_e32 v[2:3], v[32:33], v[38:39]
	v_fma_f64 v[68:69], v[32:33], v[36:37], v[0:1]
	s_delay_alu instid0(VALU_DEP_2)
	v_fma_f64 v[70:71], v[34:35], v[36:37], -v[2:3]
	global_load_b128 v[36:39], v[8:9], off
	s_clause 0x1
	global_load_b128 v[177:180], v167, s[8:9] offset:1792
	global_load_b128 v[185:188], v167, s[8:9] offset:2688
	scratch_store_b128 off, v[40:43], off offset:44 ; 16-byte Folded Spill
	s_wait_loadcnt 0x1
	v_mul_f64_e32 v[0:1], v[38:39], v[179:180]
	v_mul_f64_e32 v[2:3], v[36:37], v[179:180]
	s_delay_alu instid0(VALU_DEP_2) | instskip(SKIP_1) | instid1(VALU_DEP_3)
	v_fma_f64 v[72:73], v[36:37], v[177:178], v[0:1]
	v_mul_f64_e32 v[0:1], v[30:31], v[42:43]
	v_fma_f64 v[74:75], v[38:39], v[177:178], -v[2:3]
	v_mul_f64_e32 v[2:3], v[28:29], v[42:43]
	s_delay_alu instid0(VALU_DEP_3) | instskip(SKIP_3) | instid1(VALU_DEP_4)
	v_fma_f64 v[76:77], v[28:29], v[40:41], v[0:1]
	v_add_co_u32 v0, vcc_lo, v10, s14
	s_wait_alu 0xfffd
	v_add_co_ci_u32_e32 v1, vcc_lo, s15, v11, vcc_lo
	v_fma_f64 v[78:79], v[30:31], v[40:41], -v[2:3]
	global_load_b128 v[28:31], v[0:1], off
	v_add_co_u32 v0, vcc_lo, v0, s4
	s_wait_alu 0xfffd
	v_add_co_ci_u32_e32 v1, vcc_lo, s5, v1, vcc_lo
	global_load_b128 v[36:39], v[0:1], off
	s_clause 0x1
	global_load_b128 v[40:43], v167, s[8:9] offset:8960
	global_load_b128 v[181:184], v167, s[8:9] offset:9856
	v_add_co_u32 v0, vcc_lo, v0, s14
	s_wait_alu 0xfffd
	v_add_co_ci_u32_e32 v1, vcc_lo, s15, v1, vcc_lo
	global_load_b128 v[48:51], v[0:1], off
	s_clause 0x1
	global_load_b128 v[44:47], v167, s[8:9] offset:3584
	global_load_b128 v[173:176], v167, s[8:9] offset:4480
	v_add_co_u32 v0, vcc_lo, v0, s4
	s_wait_alu 0xfffd
	v_add_co_ci_u32_e32 v1, vcc_lo, s5, v1, vcc_lo
	s_wait_loadcnt 0x6
	v_mul_f64_e32 v[2:3], v[30:31], v[187:188]
	v_mul_f64_e32 v[4:5], v[28:29], v[187:188]
	s_delay_alu instid0(VALU_DEP_2) | instskip(NEXT) | instid1(VALU_DEP_2)
	v_fma_f64 v[80:81], v[28:29], v[185:186], v[2:3]
	v_fma_f64 v[82:83], v[30:31], v[185:186], -v[4:5]
	s_wait_loadcnt 0x4
	v_mul_f64_e32 v[2:3], v[38:39], v[42:43]
	v_mul_f64_e32 v[4:5], v[36:37], v[42:43]
	s_delay_alu instid0(VALU_DEP_2) | instskip(NEXT) | instid1(VALU_DEP_2)
	v_fma_f64 v[84:85], v[36:37], v[40:41], v[2:3]
	v_fma_f64 v[86:87], v[38:39], v[40:41], -v[4:5]
	;; [unrolled: 6-line block ×3, first 2 shown]
	global_load_b128 v[48:51], v[0:1], off
	v_add_co_u32 v0, vcc_lo, v0, s14
	s_wait_alu 0xfffd
	v_add_co_ci_u32_e32 v1, vcc_lo, s15, v1, vcc_lo
	s_wait_loadcnt 0x0
	v_mul_f64_e32 v[2:3], v[50:51], v[183:184]
	v_mul_f64_e32 v[4:5], v[48:49], v[183:184]
	s_delay_alu instid0(VALU_DEP_2) | instskip(NEXT) | instid1(VALU_DEP_2)
	v_fma_f64 v[92:93], v[48:49], v[181:182], v[2:3]
	v_fma_f64 v[94:95], v[50:51], v[181:182], -v[4:5]
	global_load_b128 v[48:51], v[0:1], off
	v_add_co_u32 v0, vcc_lo, v0, s4
	s_wait_alu 0xfffd
	v_add_co_ci_u32_e32 v1, vcc_lo, s5, v1, vcc_lo
	s_wait_loadcnt 0x0
	v_mul_f64_e32 v[2:3], v[50:51], v[175:176]
	v_mul_f64_e32 v[4:5], v[48:49], v[175:176]
	s_delay_alu instid0(VALU_DEP_2) | instskip(NEXT) | instid1(VALU_DEP_2)
	v_fma_f64 v[96:97], v[48:49], v[173:174], v[2:3]
	v_fma_f64 v[98:99], v[50:51], v[173:174], -v[4:5]
	global_load_b128 v[100:103], v[0:1], off
	s_clause 0x1
	global_load_b128 v[48:51], v167, s[8:9] offset:10752
	global_load_b128 v[52:55], v167, s[8:9] offset:11648
	v_add_co_u32 v0, vcc_lo, v0, s14
	s_wait_alu 0xfffd
	v_add_co_ci_u32_e32 v1, vcc_lo, s15, v1, vcc_lo
	s_mov_b32 s15, 0x3febfeb5
	s_mov_b32 s14, s16
	global_load_b128 v[104:107], v[0:1], off
	v_add_co_u32 v0, vcc_lo, v0, s4
	s_wait_alu 0xfffd
	v_add_co_ci_u32_e32 v1, vcc_lo, s5, v1, vcc_lo
	global_load_b128 v[108:111], v[0:1], off
	s_wait_loadcnt 0x3
	v_mul_f64_e32 v[2:3], v[102:103], v[50:51]
	v_mul_f64_e32 v[4:5], v[100:101], v[50:51]
	s_wait_loadcnt 0x0
	v_mul_f64_e32 v[0:1], v[110:111], v[54:55]
	s_delay_alu instid0(VALU_DEP_3) | instskip(SKIP_1) | instid1(VALU_DEP_4)
	v_fma_f64 v[100:101], v[100:101], v[48:49], v[2:3]
	v_mul_f64_e32 v[2:3], v[106:107], v[191:192]
	v_fma_f64 v[102:103], v[102:103], v[48:49], -v[4:5]
	v_mul_f64_e32 v[4:5], v[104:105], v[191:192]
	s_delay_alu instid0(VALU_DEP_3) | instskip(SKIP_1) | instid1(VALU_DEP_3)
	v_fma_f64 v[104:105], v[104:105], v[189:190], v[2:3]
	v_mul_f64_e32 v[2:3], v[108:109], v[54:55]
	v_fma_f64 v[106:107], v[106:107], v[189:190], -v[4:5]
	v_fma_f64 v[108:109], v[108:109], v[52:53], v[0:1]
	v_lshlrev_b32_e32 v0, 5, v120
	s_delay_alu instid0(VALU_DEP_4)
	v_fma_f64 v[110:111], v[110:111], v[52:53], -v[2:3]
	ds_store_b128 v167, v[56:59]
	ds_store_b128 v167, v[68:71] offset:896
	ds_store_b128 v167, v[60:63] offset:7168
	;; [unrolled: 1-line block ×13, first 2 shown]
	s_load_b128 s[4:7], s[6:7], 0x0
	global_wb scope:SCOPE_SE
	s_wait_storecnt_dscnt 0x0
	s_wait_kmcnt 0x0
	s_barrier_signal -1
	s_barrier_wait -1
	global_inv scope:SCOPE_SE
	ds_load_b128 v[56:59], v167 offset:6272
	ds_load_b128 v[60:63], v167
	ds_load_b128 v[64:67], v167 offset:896
	ds_load_b128 v[68:71], v167 offset:5376
	;; [unrolled: 1-line block ×12, first 2 shown]
	global_wb scope:SCOPE_SE
	s_wait_dscnt 0x0
	s_barrier_signal -1
	s_barrier_wait -1
	global_inv scope:SCOPE_SE
	s_mul_u64 s[2:3], s[4:5], s[2:3]
	v_add_f64_e64 v[56:57], v[60:61], -v[56:57]
	v_add_f64_e64 v[58:59], v[62:63], -v[58:59]
	;; [unrolled: 1-line block ×14, first 2 shown]
	v_fma_f64 v[60:61], v[60:61], 2.0, -v[56:57]
	v_fma_f64 v[62:63], v[62:63], 2.0, -v[58:59]
	v_fma_f64 v[64:65], v[64:65], 2.0, -v[72:73]
	v_fma_f64 v[66:67], v[66:67], 2.0, -v[74:75]
	v_fma_f64 v[80:81], v[80:81], 2.0, -v[76:77]
	v_fma_f64 v[82:83], v[82:83], 2.0, -v[78:79]
	v_fma_f64 v[84:85], v[84:85], 2.0, -v[88:89]
	v_fma_f64 v[86:87], v[86:87], 2.0, -v[90:91]
	v_fma_f64 v[96:97], v[96:97], 2.0, -v[92:93]
	v_fma_f64 v[98:99], v[98:99], 2.0, -v[94:95]
	v_fma_f64 v[100:101], v[100:101], 2.0, -v[104:105]
	v_fma_f64 v[102:103], v[102:103], 2.0, -v[106:107]
	v_fma_f64 v[112:113], v[68:69], 2.0, -v[108:109]
	v_fma_f64 v[114:115], v[70:71], 2.0, -v[110:111]
	ds_store_b128 v164, v[56:59] offset:16
	ds_store_b128 v164, v[60:63]
	scratch_store_b32 off, v0, off offset:96 ; 4-byte Folded Spill
	ds_store_b128 v164, v[64:67] offset:1792
	ds_store_b128 v0, v[72:75] offset:16
	v_lshlrev_b32_e32 v73, 1, v165
	v_and_b32_e32 v60, 1, v165
	s_delay_alu instid0(VALU_DEP_2)
	v_add_nc_u32_e32 v68, 0xe0, v73
	v_lshlrev_b32_e32 v168, 4, v73
	v_add_nc_u32_e32 v69, 0x150, v73
	v_add_nc_u32_e32 v71, 0x1c0, v73
	;; [unrolled: 1-line block ×3, first 2 shown]
	v_lshlrev_b32_e32 v0, 4, v68
	v_add_nc_u32_e32 v72, 0x2a0, v73
	scratch_store_b32 off, v0, off offset:92 ; 4-byte Folded Spill
	ds_store_b128 v168, v[80:83] offset:3584
	ds_store_b128 v0, v[76:79] offset:16
	v_lshlrev_b32_e32 v0, 4, v69
	scratch_store_b32 off, v0, off offset:88 ; 4-byte Folded Spill
	ds_store_b128 v0, v[88:91] offset:16
	ds_store_b128 v168, v[84:87] offset:5376
	;; [unrolled: 1-line block ×3, first 2 shown]
	v_lshlrev_b32_e32 v0, 4, v71
	scratch_store_b32 off, v0, off offset:84 ; 4-byte Folded Spill
	ds_store_b128 v0, v[92:95] offset:16
	v_lshlrev_b32_e32 v0, 4, v70
	scratch_store_b32 off, v0, off offset:80 ; 4-byte Folded Spill
	ds_store_b128 v0, v[104:107] offset:16
	ds_store_b128 v168, v[100:103] offset:8960
	;; [unrolled: 1-line block ×3, first 2 shown]
	v_lshlrev_b32_e32 v0, 4, v72
	scratch_store_b32 off, v0, off offset:76 ; 4-byte Folded Spill
	ds_store_b128 v0, v[108:111] offset:16
	v_lshlrev_b32_e32 v0, 4, v60
	global_wb scope:SCOPE_SE
	s_wait_storecnt_dscnt 0x0
	s_barrier_signal -1
	s_barrier_wait -1
	global_inv scope:SCOPE_SE
	global_load_b128 v[56:59], v0, s[10:11]
	ds_load_b128 v[61:64], v167 offset:6272
	ds_load_b128 v[74:77], v167 offset:5376
	s_wait_loadcnt_dscnt 0x1
	v_mul_f64_e32 v[0:1], v[63:64], v[58:59]
	v_mul_f64_e32 v[2:3], v[61:62], v[58:59]
	s_delay_alu instid0(VALU_DEP_2) | instskip(NEXT) | instid1(VALU_DEP_2)
	v_fma_f64 v[0:1], v[61:62], v[56:57], -v[0:1]
	v_fma_f64 v[2:3], v[63:64], v[56:57], v[2:3]
	ds_load_b128 v[61:64], v167 offset:7168
	ds_load_b128 v[78:81], v167 offset:8064
	s_wait_dscnt 0x1
	v_mul_f64_e32 v[4:5], v[63:64], v[58:59]
	v_mul_f64_e32 v[6:7], v[61:62], v[58:59]
	s_wait_dscnt 0x0
	v_mul_f64_e32 v[8:9], v[80:81], v[58:59]
	v_mul_f64_e32 v[10:11], v[78:79], v[58:59]
	s_delay_alu instid0(VALU_DEP_4) | instskip(NEXT) | instid1(VALU_DEP_4)
	v_fma_f64 v[4:5], v[61:62], v[56:57], -v[4:5]
	v_fma_f64 v[6:7], v[63:64], v[56:57], v[6:7]
	s_delay_alu instid0(VALU_DEP_4) | instskip(NEXT) | instid1(VALU_DEP_4)
	v_fma_f64 v[8:9], v[78:79], v[56:57], -v[8:9]
	v_fma_f64 v[10:11], v[80:81], v[56:57], v[10:11]
	ds_load_b128 v[61:64], v167 offset:8960
	ds_load_b128 v[78:81], v167 offset:9856
	s_wait_dscnt 0x1
	v_mul_f64_e32 v[12:13], v[63:64], v[58:59]
	v_mul_f64_e32 v[14:15], v[61:62], v[58:59]
	s_wait_dscnt 0x0
	v_mul_f64_e32 v[16:17], v[80:81], v[58:59]
	v_mul_f64_e32 v[18:19], v[78:79], v[58:59]
	s_delay_alu instid0(VALU_DEP_4) | instskip(NEXT) | instid1(VALU_DEP_4)
	v_fma_f64 v[12:13], v[61:62], v[56:57], -v[12:13]
	v_fma_f64 v[14:15], v[63:64], v[56:57], v[14:15]
	s_delay_alu instid0(VALU_DEP_4) | instskip(NEXT) | instid1(VALU_DEP_4)
	v_fma_f64 v[16:17], v[78:79], v[56:57], -v[16:17]
	v_fma_f64 v[18:19], v[80:81], v[56:57], v[18:19]
	ds_load_b128 v[61:64], v167 offset:10752
	ds_load_b128 v[78:81], v167 offset:11648
	s_wait_dscnt 0x1
	v_mul_f64_e32 v[65:66], v[63:64], v[58:59]
	s_delay_alu instid0(VALU_DEP_1) | instskip(SKIP_1) | instid1(VALU_DEP_1)
	v_fma_f64 v[65:66], v[61:62], v[56:57], -v[65:66]
	v_mul_f64_e32 v[61:62], v[61:62], v[58:59]
	v_fma_f64 v[118:119], v[63:64], v[56:57], v[61:62]
	s_wait_dscnt 0x0
	v_mul_f64_e32 v[61:62], v[80:81], v[58:59]
	s_delay_alu instid0(VALU_DEP_1) | instskip(SKIP_1) | instid1(VALU_DEP_2)
	v_fma_f64 v[125:126], v[78:79], v[56:57], -v[61:62]
	v_mul_f64_e32 v[61:62], v[78:79], v[58:59]
	v_add_f64_e64 v[125:126], v[74:75], -v[125:126]
	s_delay_alu instid0(VALU_DEP_2)
	v_fma_f64 v[127:128], v[80:81], v[56:57], v[61:62]
	ds_load_b128 v[61:64], v167
	ds_load_b128 v[78:81], v167 offset:896
	ds_load_b128 v[90:93], v167 offset:1792
	;; [unrolled: 1-line block ×5, first 2 shown]
	s_wait_dscnt 0x5
	v_add_f64_e64 v[82:83], v[61:62], -v[0:1]
	v_add_f64_e64 v[84:85], v[63:64], -v[2:3]
	s_wait_dscnt 0x4
	v_add_f64_e64 v[86:87], v[78:79], -v[4:5]
	v_add_f64_e64 v[88:89], v[80:81], -v[6:7]
	;; [unrolled: 3-line block ×6, first 2 shown]
	v_and_or_b32 v0, 0x7c, v73, v60
	v_fma_f64 v[129:130], v[74:75], 2.0, -v[125:126]
	v_add_f64_e64 v[127:128], v[76:77], -v[127:128]
	s_delay_alu instid0(VALU_DEP_3)
	v_lshlrev_b32_e32 v0, 4, v0
	v_lshlrev_b32_e32 v74, 1, v120
	scratch_store_b32 off, v0, off offset:124 ; 4-byte Folded Spill
	global_wb scope:SCOPE_SE
	s_wait_storecnt 0x0
	s_barrier_signal -1
	s_barrier_wait -1
	global_inv scope:SCOPE_SE
	v_fma_f64 v[61:62], v[61:62], 2.0, -v[82:83]
	v_fma_f64 v[63:64], v[63:64], 2.0, -v[84:85]
	;; [unrolled: 1-line block ×8, first 2 shown]
	ds_store_b128 v0, v[82:85] offset:32
	ds_store_b128 v0, v[61:64]
	v_and_or_b32 v0, 0xfc, v74, v60
	v_fma_f64 v[106:107], v[106:107], 2.0, -v[114:115]
	v_fma_f64 v[108:109], v[108:109], 2.0, -v[116:117]
	;; [unrolled: 1-line block ×4, first 2 shown]
	v_lshlrev_b32_e32 v0, 4, v0
	v_fma_f64 v[131:132], v[76:77], 2.0, -v[127:128]
	v_and_b32_e32 v64, 3, v165
	scratch_store_b32 off, v0, off offset:120 ; 4-byte Folded Spill
	ds_store_b128 v0, v[78:81]
	ds_store_b128 v0, v[86:89] offset:32
	v_and_or_b32 v0, 0x1fc, v68, v60
	s_delay_alu instid0(VALU_DEP_1) | instskip(SKIP_4) | instid1(VALU_DEP_1)
	v_lshlrev_b32_e32 v0, 4, v0
	scratch_store_b32 off, v0, off offset:116 ; 4-byte Folded Spill
	ds_store_b128 v0, v[90:93]
	ds_store_b128 v0, v[98:101] offset:32
	v_and_or_b32 v0, 0x1fc, v69, v60
	v_lshlrev_b32_e32 v0, 4, v0
	scratch_store_b32 off, v0, off offset:112 ; 4-byte Folded Spill
	ds_store_b128 v0, v[94:97]
	ds_store_b128 v0, v[102:105] offset:32
	v_and_or_b32 v0, 0x3fc, v71, v60
	s_delay_alu instid0(VALU_DEP_1) | instskip(SKIP_4) | instid1(VALU_DEP_1)
	v_lshlrev_b32_e32 v0, 4, v0
	scratch_store_b32 off, v0, off offset:108 ; 4-byte Folded Spill
	ds_store_b128 v0, v[106:109]
	ds_store_b128 v0, v[114:117] offset:32
	v_and_or_b32 v0, 0x2fc, v70, v60
	v_lshlrev_b32_e32 v0, 4, v0
	scratch_store_b32 off, v0, off offset:104 ; 4-byte Folded Spill
	ds_store_b128 v0, v[110:113]
	ds_store_b128 v0, v[121:124] offset:32
	v_and_or_b32 v0, 0x3fc, v72, v60
	s_delay_alu instid0(VALU_DEP_1)
	v_lshlrev_b32_e32 v0, 4, v0
	scratch_store_b32 off, v0, off offset:100 ; 4-byte Folded Spill
	ds_store_b128 v0, v[129:132]
	ds_store_b128 v0, v[125:128] offset:32
	v_lshlrev_b32_e32 v0, 4, v64
	global_wb scope:SCOPE_SE
	s_wait_storecnt_dscnt 0x0
	s_barrier_signal -1
	s_barrier_wait -1
	global_inv scope:SCOPE_SE
	global_load_b128 v[60:63], v0, s[10:11] offset:32
	ds_load_b128 v[75:78], v167 offset:6272
	ds_load_b128 v[79:82], v167 offset:5376
	s_wait_loadcnt_dscnt 0x1
	v_mul_f64_e32 v[0:1], v[77:78], v[62:63]
	v_mul_f64_e32 v[2:3], v[75:76], v[62:63]
	s_delay_alu instid0(VALU_DEP_2) | instskip(NEXT) | instid1(VALU_DEP_2)
	v_fma_f64 v[0:1], v[75:76], v[60:61], -v[0:1]
	v_fma_f64 v[2:3], v[77:78], v[60:61], v[2:3]
	ds_load_b128 v[75:78], v167 offset:7168
	ds_load_b128 v[83:86], v167 offset:8064
	s_wait_dscnt 0x1
	v_mul_f64_e32 v[4:5], v[77:78], v[62:63]
	v_mul_f64_e32 v[6:7], v[75:76], v[62:63]
	s_wait_dscnt 0x0
	v_mul_f64_e32 v[8:9], v[85:86], v[62:63]
	v_mul_f64_e32 v[10:11], v[83:84], v[62:63]
	s_delay_alu instid0(VALU_DEP_4) | instskip(NEXT) | instid1(VALU_DEP_4)
	v_fma_f64 v[4:5], v[75:76], v[60:61], -v[4:5]
	v_fma_f64 v[6:7], v[77:78], v[60:61], v[6:7]
	s_delay_alu instid0(VALU_DEP_4) | instskip(NEXT) | instid1(VALU_DEP_4)
	v_fma_f64 v[8:9], v[83:84], v[60:61], -v[8:9]
	v_fma_f64 v[10:11], v[85:86], v[60:61], v[10:11]
	ds_load_b128 v[75:78], v167 offset:8960
	ds_load_b128 v[83:86], v167 offset:9856
	s_wait_dscnt 0x1
	v_mul_f64_e32 v[12:13], v[77:78], v[62:63]
	v_mul_f64_e32 v[14:15], v[75:76], v[62:63]
	s_wait_dscnt 0x0
	v_mul_f64_e32 v[16:17], v[85:86], v[62:63]
	v_mul_f64_e32 v[18:19], v[83:84], v[62:63]
	s_delay_alu instid0(VALU_DEP_4) | instskip(NEXT) | instid1(VALU_DEP_4)
	v_fma_f64 v[12:13], v[75:76], v[60:61], -v[12:13]
	v_fma_f64 v[14:15], v[77:78], v[60:61], v[14:15]
	s_delay_alu instid0(VALU_DEP_4) | instskip(NEXT) | instid1(VALU_DEP_4)
	v_fma_f64 v[16:17], v[83:84], v[60:61], -v[16:17]
	v_fma_f64 v[18:19], v[85:86], v[60:61], v[18:19]
	ds_load_b128 v[75:78], v167 offset:10752
	ds_load_b128 v[83:86], v167 offset:11648
	s_wait_dscnt 0x1
	v_mul_f64_e32 v[65:66], v[77:78], v[62:63]
	s_delay_alu instid0(VALU_DEP_1) | instskip(SKIP_1) | instid1(VALU_DEP_1)
	v_fma_f64 v[65:66], v[75:76], v[60:61], -v[65:66]
	v_mul_f64_e32 v[75:76], v[75:76], v[62:63]
	v_fma_f64 v[127:128], v[77:78], v[60:61], v[75:76]
	s_wait_dscnt 0x0
	v_mul_f64_e32 v[75:76], v[85:86], v[62:63]
	s_delay_alu instid0(VALU_DEP_1) | instskip(SKIP_1) | instid1(VALU_DEP_2)
	v_fma_f64 v[129:130], v[83:84], v[60:61], -v[75:76]
	v_mul_f64_e32 v[75:76], v[83:84], v[62:63]
	v_add_f64_e64 v[129:130], v[79:80], -v[129:130]
	s_delay_alu instid0(VALU_DEP_2)
	v_fma_f64 v[131:132], v[85:86], v[60:61], v[75:76]
	ds_load_b128 v[75:78], v167
	ds_load_b128 v[83:86], v167 offset:896
	ds_load_b128 v[95:98], v167 offset:1792
	;; [unrolled: 1-line block ×5, first 2 shown]
	s_wait_dscnt 0x5
	v_add_f64_e64 v[87:88], v[75:76], -v[0:1]
	v_add_f64_e64 v[89:90], v[77:78], -v[2:3]
	s_wait_dscnt 0x4
	v_add_f64_e64 v[91:92], v[83:84], -v[4:5]
	v_add_f64_e64 v[93:94], v[85:86], -v[6:7]
	;; [unrolled: 3-line block ×6, first 2 shown]
	v_and_or_b32 v0, 0x78, v73, v64
	s_delay_alu instid0(VALU_DEP_1)
	v_lshlrev_b32_e32 v0, 4, v0
	v_add_f64_e64 v[131:132], v[81:82], -v[131:132]
	v_fma_f64 v[79:80], v[79:80], 2.0, -v[129:130]
	scratch_store_b32 off, v0, off offset:152 ; 4-byte Folded Spill
	global_wb scope:SCOPE_SE
	s_wait_storecnt 0x0
	s_barrier_signal -1
	s_barrier_wait -1
	global_inv scope:SCOPE_SE
	v_fma_f64 v[75:76], v[75:76], 2.0, -v[87:88]
	v_fma_f64 v[77:78], v[77:78], 2.0, -v[89:90]
	;; [unrolled: 1-line block ×8, first 2 shown]
	ds_store_b128 v0, v[87:90] offset:64
	ds_store_b128 v0, v[75:78]
	v_and_or_b32 v0, 0xf8, v74, v64
	v_fma_f64 v[111:112], v[111:112], 2.0, -v[121:122]
	v_fma_f64 v[113:114], v[113:114], 2.0, -v[123:124]
	v_fma_f64 v[115:116], v[115:116], 2.0, -v[125:126]
	v_fma_f64 v[117:118], v[117:118], 2.0, -v[127:128]
	v_lshlrev_b32_e32 v0, 4, v0
	v_fma_f64 v[81:82], v[81:82], 2.0, -v[131:132]
	v_and_b32_e32 v75, 7, v165
	scratch_store_b32 off, v0, off offset:148 ; 4-byte Folded Spill
	ds_store_b128 v0, v[83:86]
	ds_store_b128 v0, v[91:94] offset:64
	v_and_or_b32 v0, 0x1f8, v68, v64
	s_delay_alu instid0(VALU_DEP_1) | instskip(SKIP_4) | instid1(VALU_DEP_1)
	v_lshlrev_b32_e32 v0, 4, v0
	scratch_store_b32 off, v0, off offset:144 ; 4-byte Folded Spill
	ds_store_b128 v0, v[95:98]
	ds_store_b128 v0, v[103:106] offset:64
	v_and_or_b32 v0, 0x1f8, v69, v64
	v_lshlrev_b32_e32 v0, 4, v0
	scratch_store_b32 off, v0, off offset:140 ; 4-byte Folded Spill
	ds_store_b128 v0, v[99:102]
	ds_store_b128 v0, v[107:110] offset:64
	v_and_or_b32 v0, 0x3f8, v71, v64
	s_delay_alu instid0(VALU_DEP_1) | instskip(SKIP_4) | instid1(VALU_DEP_1)
	v_lshlrev_b32_e32 v0, 4, v0
	scratch_store_b32 off, v0, off offset:136 ; 4-byte Folded Spill
	ds_store_b128 v0, v[111:114]
	ds_store_b128 v0, v[121:124] offset:64
	v_and_or_b32 v0, 0x2f8, v70, v64
	v_lshlrev_b32_e32 v0, 4, v0
	scratch_store_b32 off, v0, off offset:132 ; 4-byte Folded Spill
	ds_store_b128 v0, v[115:118]
	ds_store_b128 v0, v[125:128] offset:64
	v_and_or_b32 v0, 0x3f8, v72, v64
	s_delay_alu instid0(VALU_DEP_1)
	v_lshlrev_b32_e32 v0, 4, v0
	scratch_store_b32 off, v0, off offset:128 ; 4-byte Folded Spill
	ds_store_b128 v0, v[79:82]
	ds_store_b128 v0, v[129:132] offset:64
	v_lshlrev_b32_e32 v0, 4, v75
	global_wb scope:SCOPE_SE
	s_wait_storecnt_dscnt 0x0
	s_barrier_signal -1
	s_barrier_wait -1
	global_inv scope:SCOPE_SE
	global_load_b128 v[64:67], v0, s[10:11] offset:96
	ds_load_b128 v[76:79], v167 offset:6272
	ds_load_b128 v[80:83], v167 offset:5376
	s_wait_loadcnt_dscnt 0x1
	v_mul_f64_e32 v[0:1], v[78:79], v[66:67]
	v_mul_f64_e32 v[2:3], v[76:77], v[66:67]
	s_delay_alu instid0(VALU_DEP_2) | instskip(NEXT) | instid1(VALU_DEP_2)
	v_fma_f64 v[0:1], v[76:77], v[64:65], -v[0:1]
	v_fma_f64 v[2:3], v[78:79], v[64:65], v[2:3]
	ds_load_b128 v[76:79], v167 offset:7168
	ds_load_b128 v[84:87], v167 offset:8064
	s_wait_dscnt 0x1
	v_mul_f64_e32 v[4:5], v[78:79], v[66:67]
	v_mul_f64_e32 v[6:7], v[76:77], v[66:67]
	s_wait_dscnt 0x0
	v_mul_f64_e32 v[8:9], v[86:87], v[66:67]
	v_mul_f64_e32 v[10:11], v[84:85], v[66:67]
	s_delay_alu instid0(VALU_DEP_4) | instskip(NEXT) | instid1(VALU_DEP_4)
	v_fma_f64 v[4:5], v[76:77], v[64:65], -v[4:5]
	v_fma_f64 v[6:7], v[78:79], v[64:65], v[6:7]
	s_delay_alu instid0(VALU_DEP_4) | instskip(NEXT) | instid1(VALU_DEP_4)
	v_fma_f64 v[8:9], v[84:85], v[64:65], -v[8:9]
	v_fma_f64 v[10:11], v[86:87], v[64:65], v[10:11]
	ds_load_b128 v[76:79], v167 offset:8960
	ds_load_b128 v[84:87], v167 offset:9856
	s_wait_dscnt 0x1
	v_mul_f64_e32 v[12:13], v[78:79], v[66:67]
	v_mul_f64_e32 v[14:15], v[76:77], v[66:67]
	s_wait_dscnt 0x0
	v_mul_f64_e32 v[16:17], v[86:87], v[66:67]
	v_mul_f64_e32 v[18:19], v[84:85], v[66:67]
	s_delay_alu instid0(VALU_DEP_4) | instskip(NEXT) | instid1(VALU_DEP_4)
	v_fma_f64 v[12:13], v[76:77], v[64:65], -v[12:13]
	v_fma_f64 v[14:15], v[78:79], v[64:65], v[14:15]
	s_delay_alu instid0(VALU_DEP_4) | instskip(NEXT) | instid1(VALU_DEP_4)
	v_fma_f64 v[16:17], v[84:85], v[64:65], -v[16:17]
	v_fma_f64 v[18:19], v[86:87], v[64:65], v[18:19]
	ds_load_b128 v[76:79], v167 offset:10752
	ds_load_b128 v[84:87], v167 offset:11648
	s_wait_dscnt 0x1
	v_mul_f64_e32 v[88:89], v[78:79], v[66:67]
	s_delay_alu instid0(VALU_DEP_1) | instskip(SKIP_1) | instid1(VALU_DEP_1)
	v_fma_f64 v[125:126], v[76:77], v[64:65], -v[88:89]
	v_mul_f64_e32 v[76:77], v[76:77], v[66:67]
	v_fma_f64 v[127:128], v[78:79], v[64:65], v[76:77]
	s_wait_dscnt 0x0
	v_mul_f64_e32 v[76:77], v[86:87], v[66:67]
	s_delay_alu instid0(VALU_DEP_1) | instskip(SKIP_1) | instid1(VALU_DEP_2)
	v_fma_f64 v[129:130], v[84:85], v[64:65], -v[76:77]
	v_mul_f64_e32 v[76:77], v[84:85], v[66:67]
	v_add_f64_e64 v[129:130], v[80:81], -v[129:130]
	s_delay_alu instid0(VALU_DEP_2)
	v_fma_f64 v[131:132], v[86:87], v[64:65], v[76:77]
	ds_load_b128 v[76:79], v167
	ds_load_b128 v[84:87], v167 offset:896
	ds_load_b128 v[96:99], v167 offset:1792
	;; [unrolled: 1-line block ×5, first 2 shown]
	global_wb scope:SCOPE_SE
	s_wait_dscnt 0x0
	s_barrier_signal -1
	s_barrier_wait -1
	global_inv scope:SCOPE_SE
	v_add_f64_e64 v[88:89], v[76:77], -v[0:1]
	v_add_f64_e64 v[92:93], v[84:85], -v[4:5]
	;; [unrolled: 1-line block ×12, first 2 shown]
	v_and_or_b32 v0, 0x70, v73, v75
	s_delay_alu instid0(VALU_DEP_1) | instskip(SKIP_3) | instid1(VALU_DEP_2)
	v_lshlrev_b32_e32 v255, 4, v0
	v_add_f64_e64 v[131:132], v[82:83], -v[131:132]
	v_and_or_b32 v0, 0xf0, v74, v75
	v_fma_f64 v[80:81], v[80:81], 2.0, -v[129:130]
	v_lshlrev_b32_e32 v166, 4, v0
	v_and_or_b32 v0, 0x1f0, v68, v75
	s_delay_alu instid0(VALU_DEP_1)
	v_lshlrev_b32_e32 v0, 4, v0
	v_fma_f64 v[76:77], v[76:77], 2.0, -v[88:89]
	v_fma_f64 v[84:85], v[84:85], 2.0, -v[92:93]
	;; [unrolled: 1-line block ×12, first 2 shown]
	ds_store_b128 v255, v[88:91] offset:128
	ds_store_b128 v255, v[76:79]
	ds_store_b128 v166, v[84:87]
	ds_store_b128 v166, v[92:95] offset:128
	scratch_store_b32 off, v0, off offset:172 ; 4-byte Folded Spill
	ds_store_b128 v0, v[96:99]
	ds_store_b128 v0, v[104:107] offset:128
	v_and_or_b32 v0, 0x1f0, v69, v75
	v_fma_f64 v[82:83], v[82:83], 2.0, -v[131:132]
	s_delay_alu instid0(VALU_DEP_2) | instskip(SKIP_4) | instid1(VALU_DEP_1)
	v_lshlrev_b32_e32 v0, 4, v0
	scratch_store_b32 off, v0, off offset:168 ; 4-byte Folded Spill
	ds_store_b128 v0, v[100:103]
	ds_store_b128 v0, v[108:111] offset:128
	v_and_or_b32 v0, 0x3f0, v71, v75
	v_lshlrev_b32_e32 v0, 4, v0
	scratch_store_b32 off, v0, off offset:164 ; 4-byte Folded Spill
	ds_store_b128 v0, v[112:115]
	ds_store_b128 v0, v[121:124] offset:128
	v_and_or_b32 v0, 0x2f0, v70, v75
	v_and_b32_e32 v121, 15, v165
	v_and_b32_e32 v122, 15, v120
	s_delay_alu instid0(VALU_DEP_3) | instskip(NEXT) | instid1(VALU_DEP_2)
	v_lshlrev_b32_e32 v0, 4, v0
	v_mad_co_u64_u32 v[18:19], null, 0x60, v122, s[10:11]
	scratch_store_b32 off, v0, off offset:160 ; 4-byte Folded Spill
	ds_store_b128 v0, v[116:119]
	ds_store_b128 v0, v[125:128] offset:128
	v_and_or_b32 v0, 0x3f0, v72, v75
	s_delay_alu instid0(VALU_DEP_1)
	v_lshlrev_b32_e32 v0, 4, v0
	scratch_store_b32 off, v0, off offset:156 ; 4-byte Folded Spill
	ds_store_b128 v0, v[80:83]
	ds_store_b128 v0, v[129:132] offset:128
	v_mad_co_u64_u32 v[0:1], null, 0x60, v121, s[10:11]
	global_wb scope:SCOPE_SE
	s_wait_storecnt_dscnt 0x0
	s_barrier_signal -1
	s_barrier_wait -1
	global_inv scope:SCOPE_SE
	s_clause 0x1
	global_load_b128 v[68:71], v[0:1], off offset:224
	global_load_b128 v[72:75], v[0:1], off offset:240
	ds_load_b128 v[76:79], v167 offset:1792
	ds_load_b128 v[80:83], v167 offset:2688
	s_wait_loadcnt_dscnt 0x101
	v_mul_f64_e32 v[2:3], v[78:79], v[70:71]
	v_mul_f64_e32 v[4:5], v[76:77], v[70:71]
	s_delay_alu instid0(VALU_DEP_2) | instskip(NEXT) | instid1(VALU_DEP_2)
	v_fma_f64 v[2:3], v[76:77], v[68:69], -v[2:3]
	v_fma_f64 v[4:5], v[78:79], v[68:69], v[4:5]
	ds_load_b128 v[76:79], v167 offset:3584
	ds_load_b128 v[84:87], v167 offset:4480
	s_wait_loadcnt_dscnt 0x1
	v_mul_f64_e32 v[6:7], v[78:79], v[74:75]
	v_mul_f64_e32 v[8:9], v[76:77], v[74:75]
	s_delay_alu instid0(VALU_DEP_2) | instskip(NEXT) | instid1(VALU_DEP_2)
	v_fma_f64 v[6:7], v[76:77], v[72:73], -v[6:7]
	v_fma_f64 v[8:9], v[78:79], v[72:73], v[8:9]
	s_clause 0x1
	global_load_b128 v[88:91], v[0:1], off offset:304
	global_load_b128 v[76:79], v[0:1], off offset:288
	ds_load_b128 v[92:95], v167 offset:10752
	ds_load_b128 v[112:115], v167 offset:11648
	s_wait_loadcnt_dscnt 0x101
	v_mul_f64_e32 v[10:11], v[94:95], v[90:91]
	v_mul_f64_e32 v[12:13], v[92:93], v[90:91]
	s_delay_alu instid0(VALU_DEP_2) | instskip(NEXT) | instid1(VALU_DEP_2)
	v_fma_f64 v[10:11], v[92:93], v[88:89], -v[10:11]
	v_fma_f64 v[12:13], v[94:95], v[88:89], v[12:13]
	ds_load_b128 v[92:95], v167 offset:8960
	ds_load_b128 v[116:119], v167 offset:9856
	s_clause 0x3
	global_load_b128 v[104:107], v[18:19], off offset:224
	global_load_b128 v[96:99], v[18:19], off offset:240
	;; [unrolled: 1-line block ×4, first 2 shown]
	s_wait_loadcnt_dscnt 0x401
	v_mul_f64_e32 v[14:15], v[94:95], v[78:79]
	v_mul_f64_e32 v[16:17], v[92:93], v[78:79]
	v_add_f64_e32 v[137:138], v[2:3], v[10:11]
	v_add_f64_e32 v[141:142], v[4:5], v[12:13]
	v_add_f64_e64 v[2:3], v[2:3], -v[10:11]
	v_add_f64_e64 v[4:5], v[4:5], -v[12:13]
	v_fma_f64 v[14:15], v[92:93], v[76:77], -v[14:15]
	v_fma_f64 v[16:17], v[94:95], v[76:77], v[16:17]
	s_delay_alu instid0(VALU_DEP_1) | instskip(SKIP_3) | instid1(VALU_DEP_1)
	v_add_f64_e32 v[143:144], v[8:9], v[16:17]
	v_add_f64_e64 v[8:9], v[8:9], -v[16:17]
	s_wait_loadcnt 0x3
	v_mul_f64_e32 v[92:93], v[82:83], v[106:107]
	v_fma_f64 v[151:152], v[80:81], v[104:105], -v[92:93]
	v_mul_f64_e32 v[80:81], v[80:81], v[106:107]
	s_delay_alu instid0(VALU_DEP_1) | instskip(SKIP_2) | instid1(VALU_DEP_1)
	v_fma_f64 v[153:154], v[82:83], v[104:105], v[80:81]
	s_wait_loadcnt 0x2
	v_mul_f64_e32 v[80:81], v[86:87], v[98:99]
	v_fma_f64 v[155:156], v[84:85], v[96:97], -v[80:81]
	v_mul_f64_e32 v[80:81], v[84:85], v[98:99]
	s_delay_alu instid0(VALU_DEP_1)
	v_fma_f64 v[157:158], v[86:87], v[96:97], v[80:81]
	s_clause 0x1
	global_load_b128 v[92:95], v[0:1], off offset:256
	global_load_b128 v[84:87], v[0:1], off offset:272
	s_wait_loadcnt 0x3
	v_mul_f64_e32 v[80:81], v[114:115], v[110:111]
	s_delay_alu instid0(VALU_DEP_1) | instskip(SKIP_1) | instid1(VALU_DEP_2)
	v_fma_f64 v[159:160], v[112:113], v[108:109], -v[80:81]
	v_mul_f64_e32 v[80:81], v[112:113], v[110:111]
	v_add_f64_e32 v[203:204], v[151:152], v[159:160]
	s_delay_alu instid0(VALU_DEP_2) | instskip(SKIP_2) | instid1(VALU_DEP_2)
	v_fma_f64 v[161:162], v[114:115], v[108:109], v[80:81]
	s_wait_loadcnt_dscnt 0x200
	v_mul_f64_e32 v[80:81], v[118:119], v[102:103]
	v_add_f64_e32 v[211:212], v[153:154], v[161:162]
	s_delay_alu instid0(VALU_DEP_2) | instskip(SKIP_1) | instid1(VALU_DEP_2)
	v_fma_f64 v[169:170], v[116:117], v[100:101], -v[80:81]
	v_mul_f64_e32 v[80:81], v[116:117], v[102:103]
	v_add_f64_e32 v[205:206], v[155:156], v[169:170]
	s_delay_alu instid0(VALU_DEP_2)
	v_fma_f64 v[171:172], v[118:119], v[100:101], v[80:81]
	ds_load_b128 v[80:83], v167 offset:5376
	ds_load_b128 v[123:126], v167 offset:6272
	v_add_f64_e32 v[149:150], v[205:206], v[203:204]
	v_add_f64_e32 v[213:214], v[157:158], v[171:172]
	s_wait_loadcnt_dscnt 0x101
	v_mul_f64_e32 v[0:1], v[82:83], v[94:95]
	s_delay_alu instid0(VALU_DEP_1) | instskip(SKIP_1) | instid1(VALU_DEP_1)
	v_fma_f64 v[0:1], v[80:81], v[92:93], -v[0:1]
	v_mul_f64_e32 v[80:81], v[80:81], v[94:95]
	v_fma_f64 v[131:132], v[82:83], v[92:93], v[80:81]
	ds_load_b128 v[80:83], v167 offset:7168
	ds_load_b128 v[127:130], v167 offset:8064
	s_wait_loadcnt_dscnt 0x1
	v_mul_f64_e32 v[112:113], v[82:83], v[86:87]
	s_delay_alu instid0(VALU_DEP_1)
	v_fma_f64 v[133:134], v[80:81], v[84:85], -v[112:113]
	s_clause 0x1
	global_load_b128 v[116:119], v[18:19], off offset:256
	global_load_b128 v[112:115], v[18:19], off offset:272
	v_mul_f64_e32 v[80:81], v[80:81], v[86:87]
	v_add_f64_e32 v[139:140], v[0:1], v[133:134]
	v_add_f64_e64 v[0:1], v[133:134], -v[0:1]
	s_delay_alu instid0(VALU_DEP_3) | instskip(NEXT) | instid1(VALU_DEP_1)
	v_fma_f64 v[135:136], v[82:83], v[84:85], v[80:81]
	v_add_f64_e32 v[145:146], v[131:132], v[135:136]
	v_add_f64_e64 v[10:11], v[135:136], -v[131:132]
	v_add_f64_e64 v[135:136], v[8:9], -v[4:5]
	s_delay_alu instid0(VALU_DEP_3) | instskip(NEXT) | instid1(VALU_DEP_3)
	v_add_f64_e64 v[221:222], v[145:146], -v[143:144]
	v_add_f64_e64 v[16:17], v[10:11], -v[8:9]
	v_add_f64_e32 v[8:9], v[10:11], v[8:9]
	s_delay_alu instid0(VALU_DEP_3) | instskip(NEXT) | instid1(VALU_DEP_3)
	v_mul_f64_e32 v[131:132], s[12:13], v[221:222]
	v_mul_f64_e32 v[16:17], s[22:23], v[16:17]
	s_delay_alu instid0(VALU_DEP_3) | instskip(SKIP_3) | instid1(VALU_DEP_2)
	v_add_f64_e32 v[8:9], v[8:9], v[4:5]
	s_wait_loadcnt 0x1
	v_mul_f64_e32 v[80:81], v[123:124], v[118:119]
	v_mul_f64_e32 v[18:19], v[125:126], v[118:119]
	v_fma_f64 v[197:198], v[125:126], v[116:117], v[80:81]
	s_wait_loadcnt_dscnt 0x0
	v_mul_f64_e32 v[80:81], v[129:130], v[114:115]
	s_delay_alu instid0(VALU_DEP_3) | instskip(NEXT) | instid1(VALU_DEP_2)
	v_fma_f64 v[18:19], v[123:124], v[116:117], -v[18:19]
	v_fma_f64 v[199:200], v[127:128], v[112:113], -v[80:81]
	v_mul_f64_e32 v[80:81], v[127:128], v[114:115]
	v_add_f64_e32 v[127:128], v[6:7], v[14:15]
	v_add_f64_e64 v[6:7], v[6:7], -v[14:15]
	s_delay_alu instid0(VALU_DEP_4) | instskip(NEXT) | instid1(VALU_DEP_4)
	v_add_f64_e32 v[207:208], v[18:19], v[199:200]
	v_fma_f64 v[201:202], v[129:130], v[112:113], v[80:81]
	s_delay_alu instid0(VALU_DEP_4) | instskip(NEXT) | instid1(VALU_DEP_4)
	v_add_f64_e32 v[80:81], v[127:128], v[137:138]
	v_add_f64_e64 v[12:13], v[0:1], -v[6:7]
	v_add_f64_e64 v[14:15], v[6:7], -v[2:3]
	v_add_f64_e32 v[6:7], v[0:1], v[6:7]
	v_add_f64_e64 v[219:220], v[127:128], -v[137:138]
	v_add_f64_e64 v[137:138], v[137:138], -v[139:140]
	;; [unrolled: 1-line block ×3, first 2 shown]
	v_add_f64_e32 v[209:210], v[207:208], v[149:150]
	v_add_f64_e32 v[215:216], v[197:198], v[201:202]
	;; [unrolled: 1-line block ×5, first 2 shown]
	v_mul_f64_e32 v[12:13], s[22:23], v[12:13]
	v_add_f64_e64 v[143:144], v[143:144], -v[141:142]
	v_add_f64_e32 v[6:7], v[6:7], v[2:3]
	v_add_f64_e64 v[2:3], v[4:5], -v[10:11]
	v_mul_f64_e32 v[4:5], s[16:17], v[14:15]
	v_mul_f64_e32 v[10:11], s[16:17], v[135:136]
	v_add_f64_e32 v[147:148], v[145:146], v[80:81]
	ds_load_b128 v[80:83], v167
	ds_load_b128 v[123:126], v167 offset:896
	v_add_f64_e32 v[217:218], v[215:216], v[149:150]
	v_add_f64_e64 v[149:150], v[139:140], -v[127:128]
	v_add_f64_e64 v[139:140], v[141:142], -v[145:146]
	v_fma_f64 v[131:132], v[143:144], s[20:21], -v[131:132]
	v_fma_f64 v[4:5], v[0:1], s[26:27], v[4:5]
	v_fma_f64 v[10:11], v[2:3], s[26:27], v[10:11]
	v_fma_f64 v[0:1], v[0:1], s[34:35], v[12:13]
	v_fma_f64 v[2:3], v[2:3], s[34:35], v[16:17]
	global_wb scope:SCOPE_SE
	s_wait_dscnt 0x0
	s_barrier_signal -1
	s_barrier_wait -1
	global_inv scope:SCOPE_SE
	v_add_f64_e32 v[80:81], v[80:81], v[129:130]
	v_add_f64_e32 v[123:124], v[123:124], v[209:210]
	;; [unrolled: 1-line block ×4, first 2 shown]
	v_mul_f64_e32 v[127:128], s[12:13], v[149:150]
	v_mul_f64_e32 v[145:146], s[28:29], v[139:140]
	v_fma_f64 v[4:5], v[6:7], s[24:25], v[4:5]
	v_fma_f64 v[10:11], v[8:9], s[24:25], v[10:11]
	;; [unrolled: 1-line block ×5, first 2 shown]
	v_fma_f64 v[129:130], v[14:15], s[14:15], -v[12:13]
	v_mul_f64_e32 v[14:15], s[28:29], v[137:138]
	v_fma_f64 v[147:148], v[147:148], s[18:19], v[82:83]
	v_fma_f64 v[127:128], v[219:220], s[20:21], -v[127:128]
	v_fma_f64 v[137:138], v[143:144], s[30:31], -v[145:146]
	v_fma_f64 v[133:134], v[6:7], s[24:25], v[129:130]
	v_fma_f64 v[129:130], v[135:136], s[14:15], -v[16:17]
	v_fma_f64 v[135:136], v[219:220], s[30:31], -v[14:15]
	v_add_f64_e32 v[229:230], v[131:132], v[147:148]
	v_add_f64_e32 v[227:228], v[127:128], v[223:224]
	;; [unrolled: 1-line block ×3, first 2 shown]
	v_fma_f64 v[225:226], v[8:9], s[24:25], v[129:130]
	v_add_f64_e32 v[139:140], v[135:136], v[223:224]
	v_add_f64_e64 v[8:9], v[201:202], -v[197:198]
	v_fma_f64 v[197:198], v[209:210], s[18:19], v[123:124]
	v_add_f64_e32 v[129:130], v[133:134], v[229:230]
	v_add_f64_e64 v[133:134], v[229:230], -v[133:134]
	v_add_f64_e64 v[137:138], v[141:142], -v[4:5]
	v_add_f64_e32 v[141:142], v[4:5], v[141:142]
	v_fma_f64 v[4:5], v[149:150], s[12:13], v[14:15]
	v_add_f64_e64 v[127:128], v[227:228], -v[225:226]
	v_add_f64_e32 v[135:136], v[10:11], v[139:140]
	v_add_f64_e64 v[139:140], v[139:140], -v[10:11]
	v_fma_f64 v[10:11], v[221:222], s[12:13], v[145:146]
	v_add_f64_e32 v[131:132], v[225:226], v[227:228]
	v_add_f64_e32 v[4:5], v[4:5], v[223:224]
	s_delay_alu instid0(VALU_DEP_3) | instskip(SKIP_2) | instid1(VALU_DEP_4)
	v_add_f64_e32 v[6:7], v[10:11], v[147:148]
	v_add_f64_e64 v[10:11], v[153:154], -v[161:162]
	v_add_f64_e64 v[161:162], v[213:214], -v[211:212]
	v_add_f64_e32 v[143:144], v[2:3], v[4:5]
	v_add_f64_e64 v[147:148], v[4:5], -v[2:3]
	v_add_f64_e64 v[2:3], v[199:200], -v[18:19]
	;; [unrolled: 1-line block ×5, first 2 shown]
	v_add_f64_e32 v[149:150], v[0:1], v[6:7]
	v_add_f64_e64 v[0:1], v[155:156], -v[169:170]
	v_add_f64_e64 v[6:7], v[157:158], -v[171:172]
	;; [unrolled: 1-line block ×4, first 2 shown]
	v_fma_f64 v[205:206], v[217:218], s[18:19], v[125:126]
	v_add_f64_e64 v[12:13], v[2:3], -v[0:1]
	v_add_f64_e64 v[14:15], v[0:1], -v[4:5]
	v_add_f64_e32 v[0:1], v[2:3], v[0:1]
	v_add_f64_e64 v[16:17], v[8:9], -v[6:7]
	v_add_f64_e64 v[18:19], v[6:7], -v[10:11]
	v_add_f64_e32 v[6:7], v[8:9], v[6:7]
	v_mul_f64_e32 v[151:152], s[12:13], v[169:170]
	v_mul_f64_e32 v[153:154], s[12:13], v[171:172]
	v_add_f64_e64 v[2:3], v[4:5], -v[2:3]
	v_mul_f64_e32 v[12:13], s[22:23], v[12:13]
	v_add_f64_e32 v[0:1], v[0:1], v[4:5]
	v_mul_f64_e32 v[16:17], s[22:23], v[16:17]
	v_add_f64_e64 v[4:5], v[10:11], -v[8:9]
	v_add_f64_e32 v[6:7], v[6:7], v[10:11]
	v_fma_f64 v[151:152], v[159:160], s[20:21], -v[151:152]
	v_fma_f64 v[153:154], v[161:162], s[20:21], -v[153:154]
	v_mul_f64_e32 v[8:9], s[16:17], v[14:15]
	v_mul_f64_e32 v[10:11], s[16:17], v[18:19]
	v_fma_f64 v[155:156], v[14:15], s[14:15], -v[12:13]
	v_add_f64_e32 v[199:200], v[151:152], v[197:198]
	v_add_f64_e32 v[201:202], v[153:154], v[205:206]
	v_fma_f64 v[8:9], v[2:3], s[26:27], v[8:9]
	v_fma_f64 v[10:11], v[4:5], s[26:27], v[10:11]
	;; [unrolled: 1-line block ×5, first 2 shown]
	v_fma_f64 v[155:156], v[18:19], s[14:15], -v[16:17]
	v_fma_f64 v[8:9], v[0:1], s[24:25], v[8:9]
	v_fma_f64 v[10:11], v[6:7], s[24:25], v[10:11]
	;; [unrolled: 1-line block ×4, first 2 shown]
	v_add_f64_e32 v[153:154], v[157:158], v[201:202]
	v_fma_f64 v[155:156], v[6:7], s[24:25], v[155:156]
	v_add_f64_e64 v[157:158], v[201:202], -v[157:158]
	v_add_f64_e64 v[201:202], v[211:212], -v[215:216]
	s_delay_alu instid0(VALU_DEP_3) | instskip(SKIP_2) | instid1(VALU_DEP_4)
	v_add_f64_e64 v[151:152], v[199:200], -v[155:156]
	v_add_f64_e32 v[155:156], v[155:156], v[199:200]
	v_add_f64_e64 v[199:200], v[203:204], -v[207:208]
	v_mul_f64_e32 v[18:19], s[28:29], v[201:202]
	s_delay_alu instid0(VALU_DEP_2) | instskip(NEXT) | instid1(VALU_DEP_2)
	v_mul_f64_e32 v[14:15], s[28:29], v[199:200]
	v_fma_f64 v[161:162], v[161:162], s[30:31], -v[18:19]
	s_delay_alu instid0(VALU_DEP_2) | instskip(NEXT) | instid1(VALU_DEP_2)
	v_fma_f64 v[159:160], v[159:160], s[30:31], -v[14:15]
	v_add_f64_e32 v[201:202], v[161:162], v[205:206]
	s_delay_alu instid0(VALU_DEP_2) | instskip(NEXT) | instid1(VALU_DEP_2)
	v_add_f64_e32 v[199:200], v[159:160], v[197:198]
	v_add_f64_e64 v[161:162], v[201:202], -v[8:9]
	v_add_f64_e32 v[201:202], v[8:9], v[201:202]
	v_fma_f64 v[8:9], v[169:170], s[12:13], v[14:15]
	s_delay_alu instid0(VALU_DEP_4) | instskip(SKIP_2) | instid1(VALU_DEP_4)
	v_add_f64_e32 v[159:160], v[10:11], v[199:200]
	v_add_f64_e64 v[199:200], v[199:200], -v[10:11]
	v_fma_f64 v[10:11], v[171:172], s[12:13], v[18:19]
	v_add_f64_e32 v[4:5], v[8:9], v[197:198]
	s_delay_alu instid0(VALU_DEP_2) | instskip(NEXT) | instid1(VALU_DEP_2)
	v_add_f64_e32 v[6:7], v[10:11], v[205:206]
	v_add_f64_e32 v[203:204], v[2:3], v[4:5]
	v_add_f64_e64 v[207:208], v[4:5], -v[2:3]
	s_delay_alu instid0(VALU_DEP_3) | instskip(SKIP_2) | instid1(VALU_DEP_1)
	v_add_f64_e64 v[205:206], v[6:7], -v[0:1]
	v_add_f64_e32 v[209:210], v[0:1], v[6:7]
	v_lshrrev_b32_e32 v0, 4, v165
	v_mul_u32_u24_e32 v0, 0x70, v0
	s_delay_alu instid0(VALU_DEP_1) | instskip(NEXT) | instid1(VALU_DEP_1)
	v_or_b32_e32 v0, v0, v121
	v_lshlrev_b32_e32 v198, 4, v0
	v_lshrrev_b32_e32 v0, 4, v120
	ds_store_b128 v198, v[80:83]
	ds_store_b128 v198, v[143:146] offset:256
	ds_store_b128 v198, v[135:138] offset:512
	;; [unrolled: 1-line block ×6, first 2 shown]
	v_mul_u32_u24_e32 v0, 0x70, v0
	s_delay_alu instid0(VALU_DEP_1) | instskip(NEXT) | instid1(VALU_DEP_1)
	v_or_b32_e32 v0, v0, v122
	v_lshlrev_b32_e32 v197, 4, v0
	v_mad_co_u64_u32 v[0:1], null, 0x60, v165, s[10:11]
	ds_store_b128 v197, v[123:126]
	ds_store_b128 v197, v[203:206] offset:256
	ds_store_b128 v197, v[159:162] offset:512
	;; [unrolled: 1-line block ×6, first 2 shown]
	global_wb scope:SCOPE_SE
	s_wait_dscnt 0x0
	s_barrier_signal -1
	s_barrier_wait -1
	global_inv scope:SCOPE_SE
	s_clause 0x1
	global_load_b128 v[80:83], v[0:1], off offset:1760
	global_load_b128 v[124:127], v[0:1], off offset:1776
	ds_load_b128 v[120:123], v167 offset:1792
	ds_load_b128 v[132:135], v167 offset:2688
	s_add_nc_u64 s[10:11], s[8:9], 0x3100
	s_wait_loadcnt_dscnt 0x101
	v_mul_f64_e32 v[2:3], v[122:123], v[82:83]
	v_mul_f64_e32 v[4:5], v[120:121], v[82:83]
	s_delay_alu instid0(VALU_DEP_2) | instskip(NEXT) | instid1(VALU_DEP_2)
	v_fma_f64 v[227:228], v[120:121], v[80:81], -v[2:3]
	v_fma_f64 v[225:226], v[122:123], v[80:81], v[4:5]
	ds_load_b128 v[120:123], v167 offset:3584
	ds_load_b128 v[136:139], v167 offset:4480
	s_wait_loadcnt_dscnt 0x1
	v_mul_f64_e32 v[6:7], v[122:123], v[126:127]
	v_mul_f64_e32 v[8:9], v[120:121], v[126:127]
	s_delay_alu instid0(VALU_DEP_2) | instskip(NEXT) | instid1(VALU_DEP_2)
	v_fma_f64 v[22:23], v[120:121], v[124:125], -v[6:7]
	v_fma_f64 v[24:25], v[122:123], v[124:125], v[8:9]
	s_clause 0x1
	global_load_b128 v[128:131], v[0:1], off offset:1792
	global_load_b128 v[120:123], v[0:1], off offset:1808
	ds_load_b128 v[140:143], v167 offset:5376
	ds_load_b128 v[156:159], v167 offset:6272
	s_wait_loadcnt_dscnt 0x101
	v_mul_f64_e32 v[10:11], v[142:143], v[130:131]
	v_mul_f64_e32 v[12:13], v[140:141], v[130:131]
	s_delay_alu instid0(VALU_DEP_2) | instskip(NEXT) | instid1(VALU_DEP_2)
	v_fma_f64 v[10:11], v[140:141], v[128:129], -v[10:11]
	v_fma_f64 v[20:21], v[142:143], v[128:129], v[12:13]
	ds_load_b128 v[140:143], v167 offset:7168
	ds_load_b128 v[160:163], v167 offset:8064
	s_wait_loadcnt_dscnt 0x1
	v_mul_f64_e32 v[14:15], v[142:143], v[122:123]
	v_mul_f64_e32 v[16:17], v[140:141], v[122:123]
	s_delay_alu instid0(VALU_DEP_2) | instskip(NEXT) | instid1(VALU_DEP_2)
	v_fma_f64 v[14:15], v[140:141], v[120:121], -v[14:15]
	v_fma_f64 v[16:17], v[142:143], v[120:121], v[16:17]
	s_clause 0x1
	global_load_b128 v[140:143], v[0:1], off offset:1824
	global_load_b128 v[144:147], v[0:1], off offset:1840
	ds_load_b128 v[148:151], v167 offset:8960
	ds_load_b128 v[199:202], v167 offset:9856
	v_add_f64_e32 v[217:218], v[10:11], v[14:15]
	v_add_f64_e64 v[10:11], v[14:15], -v[10:11]
	v_add_f64_e32 v[221:222], v[20:21], v[16:17]
	v_add_f64_e64 v[16:17], v[16:17], -v[20:21]
	s_wait_loadcnt_dscnt 0x101
	v_mul_f64_e32 v[18:19], v[150:151], v[142:143]
	s_delay_alu instid0(VALU_DEP_1) | instskip(SKIP_1) | instid1(VALU_DEP_1)
	v_fma_f64 v[18:19], v[148:149], v[140:141], -v[18:19]
	v_mul_f64_e32 v[148:149], v[148:149], v[142:143]
	v_fma_f64 v[169:170], v[150:151], v[140:141], v[148:149]
	ds_load_b128 v[148:151], v167 offset:10752
	ds_load_b128 v[203:206], v167 offset:11648
	s_wait_loadcnt_dscnt 0x1
	v_mul_f64_e32 v[152:153], v[150:151], v[146:147]
	v_add_f64_e32 v[213:214], v[24:25], v[169:170]
	s_delay_alu instid0(VALU_DEP_2) | instskip(SKIP_1) | instid1(VALU_DEP_2)
	v_fma_f64 v[171:172], v[148:149], v[144:145], -v[152:153]
	v_mul_f64_e32 v[148:149], v[148:149], v[146:147]
	v_add_f64_e32 v[215:216], v[227:228], v[171:172]
	s_delay_alu instid0(VALU_DEP_2)
	v_fma_f64 v[207:208], v[150:151], v[144:145], v[148:149]
	s_clause 0x1
	global_load_b128 v[152:155], v[0:1], off offset:7136
	global_load_b128 v[148:151], v[0:1], off offset:7152
	v_add_f64_e64 v[14:15], v[227:228], -v[171:172]
	v_add_f64_e32 v[219:220], v[225:226], v[207:208]
	v_add_f64_e64 v[20:21], v[225:226], -v[207:208]
	v_add_f64_e64 v[225:226], v[221:222], -v[213:214]
	s_delay_alu instid0(VALU_DEP_3) | instskip(SKIP_2) | instid1(VALU_DEP_1)
	v_add_f64_e64 v[171:172], v[213:214], -v[219:220]
	s_wait_loadcnt 0x1
	v_mul_f64_e32 v[209:210], v[134:135], v[154:155]
	v_fma_f64 v[231:232], v[132:133], v[152:153], -v[209:210]
	v_mul_f64_e32 v[132:133], v[132:133], v[154:155]
	s_delay_alu instid0(VALU_DEP_1) | instskip(SKIP_2) | instid1(VALU_DEP_1)
	v_fma_f64 v[233:234], v[134:135], v[152:153], v[132:133]
	s_wait_loadcnt 0x0
	v_mul_f64_e32 v[132:133], v[138:139], v[150:151]
	v_fma_f64 v[235:236], v[136:137], v[148:149], -v[132:133]
	v_mul_f64_e32 v[132:133], v[136:137], v[150:151]
	s_delay_alu instid0(VALU_DEP_1)
	v_fma_f64 v[237:238], v[138:139], v[148:149], v[132:133]
	s_clause 0x1
	global_load_b128 v[136:139], v[0:1], off offset:7168
	global_load_b128 v[132:135], v[0:1], off offset:7184
	s_wait_loadcnt 0x1
	v_mul_f64_e32 v[209:210], v[158:159], v[138:139]
	s_delay_alu instid0(VALU_DEP_1) | instskip(SKIP_4) | instid1(VALU_DEP_4)
	v_fma_f64 v[239:240], v[156:157], v[136:137], -v[209:210]
	v_mul_f64_e32 v[156:157], v[156:157], v[138:139]
	v_add_f64_e32 v[209:210], v[22:23], v[18:19]
	v_add_f64_e64 v[18:19], v[22:23], -v[18:19]
	v_add_f64_e64 v[22:23], v[24:25], -v[169:170]
	v_fma_f64 v[241:242], v[158:159], v[136:137], v[156:157]
	s_wait_loadcnt 0x0
	v_mul_f64_e32 v[156:157], v[162:163], v[134:135]
	v_add_f64_e64 v[24:25], v[209:210], -v[215:216]
	v_add_f64_e64 v[169:170], v[217:218], -v[209:210]
	v_add_f64_e32 v[207:208], v[10:11], v[18:19]
	v_add_f64_e64 v[227:228], v[16:17], -v[22:23]
	v_fma_f64 v[243:244], v[160:161], v[132:133], -v[156:157]
	v_mul_f64_e32 v[156:157], v[160:161], v[134:135]
	s_delay_alu instid0(VALU_DEP_4) | instskip(NEXT) | instid1(VALU_DEP_4)
	v_add_f64_e32 v[2:3], v[207:208], v[14:15]
	v_mul_f64_e32 v[34:35], s[22:23], v[227:228]
	v_mul_f64_e32 v[207:208], s[12:13], v[169:170]
	v_add_f64_e32 v[32:33], v[239:240], v[243:244]
	v_fma_f64 v[245:246], v[162:163], v[132:133], v[156:157]
	s_clause 0x1
	global_load_b128 v[156:159], v[0:1], off offset:7200
	global_load_b128 v[160:163], v[0:1], off offset:7216
	v_fma_f64 v[207:208], v[24:25], s[20:21], -v[207:208]
	v_add_f64_e32 v[12:13], v[241:242], v[245:246]
	s_wait_loadcnt 0x1
	v_mul_f64_e32 v[0:1], v[201:202], v[158:159]
	s_delay_alu instid0(VALU_DEP_1) | instskip(SKIP_1) | instid1(VALU_DEP_2)
	v_fma_f64 v[36:37], v[199:200], v[156:157], -v[0:1]
	v_mul_f64_e32 v[199:200], v[199:200], v[158:159]
	v_add_f64_e32 v[8:9], v[235:236], v[36:37]
	s_delay_alu instid0(VALU_DEP_2) | instskip(SKIP_2) | instid1(VALU_DEP_2)
	v_fma_f64 v[247:248], v[201:202], v[156:157], v[199:200]
	s_wait_loadcnt_dscnt 0x0
	v_mul_f64_e32 v[199:200], v[205:206], v[162:163]
	v_add_f64_e32 v[6:7], v[237:238], v[247:248]
	s_delay_alu instid0(VALU_DEP_2) | instskip(SKIP_1) | instid1(VALU_DEP_2)
	v_fma_f64 v[249:250], v[203:204], v[160:161], -v[199:200]
	v_mul_f64_e32 v[199:200], v[203:204], v[162:163]
	v_add_f64_e32 v[253:254], v[231:232], v[249:250]
	s_delay_alu instid0(VALU_DEP_2)
	v_fma_f64 v[251:252], v[205:206], v[160:161], v[199:200]
	v_add_f64_e32 v[199:200], v[209:210], v[215:216]
	v_add_f64_e64 v[209:210], v[10:11], -v[18:19]
	v_add_f64_e64 v[18:19], v[18:19], -v[14:15]
	;; [unrolled: 1-line block ×4, first 2 shown]
	v_add_f64_e32 v[229:230], v[8:9], v[253:254]
	v_add_f64_e32 v[211:212], v[217:218], v[199:200]
	;; [unrolled: 1-line block ×3, first 2 shown]
	v_mul_f64_e32 v[4:5], s[22:23], v[209:210]
	v_add_f64_e32 v[213:214], v[16:17], v[22:23]
	v_add_f64_e64 v[22:23], v[22:23], -v[20:21]
	v_mul_f64_e32 v[209:210], s[12:13], v[225:226]
	v_mul_f64_e32 v[16:17], s[16:17], v[18:19]
	v_add_f64_e32 v[28:29], v[32:33], v[229:230]
	v_add_f64_e32 v[229:230], v[233:234], v[251:252]
	;; [unrolled: 1-line block ×3, first 2 shown]
	ds_load_b128 v[199:202], v167
	ds_load_b128 v[203:206], v167 offset:896
	v_add_f64_e32 v[30:31], v[213:214], v[20:21]
	v_fma_f64 v[209:210], v[171:172], s[20:21], -v[209:210]
	v_fma_f64 v[16:17], v[10:11], s[26:27], v[16:17]
	s_wait_dscnt 0x1
	v_add_f64_e32 v[199:200], v[199:200], v[211:212]
	s_wait_dscnt 0x0
	v_add_f64_e32 v[203:204], v[203:204], v[28:29]
	v_add_f64_e32 v[26:27], v[6:7], v[229:230]
	;; [unrolled: 1-line block ×3, first 2 shown]
	v_fma_f64 v[16:17], v[2:3], s[24:25], v[16:17]
	v_fma_f64 v[227:228], v[211:212], s[18:19], v[199:200]
	v_fma_f64 v[211:212], v[18:19], s[14:15], -v[4:5]
	v_mul_f64_e32 v[18:19], s[16:17], v[22:23]
	v_fma_f64 v[4:5], v[10:11], s[34:35], v[4:5]
	v_fma_f64 v[10:11], v[14:15], s[34:35], v[34:35]
	;; [unrolled: 1-line block ×3, first 2 shown]
	v_add_f64_e32 v[26:27], v[12:13], v[26:27]
	v_fma_f64 v[223:224], v[223:224], s[18:19], v[201:202]
	v_add_f64_e32 v[0:1], v[207:208], v[227:228]
	v_fma_f64 v[213:214], v[2:3], s[24:25], v[211:212]
	v_fma_f64 v[211:212], v[22:23], s[14:15], -v[34:35]
	v_fma_f64 v[18:19], v[14:15], s[26:27], v[18:19]
	v_fma_f64 v[2:3], v[2:3], s[24:25], v[4:5]
	;; [unrolled: 1-line block ×3, first 2 shown]
	v_add_f64_e32 v[205:206], v[205:206], v[26:27]
	v_add_f64_e32 v[38:39], v[209:210], v[223:224]
	v_fma_f64 v[211:212], v[30:31], s[24:25], v[211:212]
	v_fma_f64 v[18:19], v[30:31], s[24:25], v[18:19]
	s_delay_alu instid0(VALU_DEP_4) | instskip(NEXT) | instid1(VALU_DEP_4)
	v_fma_f64 v[26:27], v[26:27], s[18:19], v[205:206]
	v_add_f64_e32 v[209:210], v[213:214], v[38:39]
	v_add_f64_e64 v[213:214], v[38:39], -v[213:214]
	v_add_f64_e64 v[38:39], v[219:220], -v[221:222]
	;; [unrolled: 1-line block ×3, first 2 shown]
	v_add_f64_e32 v[211:212], v[211:212], v[0:1]
	v_add_f64_e64 v[0:1], v[215:216], -v[217:218]
	s_delay_alu instid0(VALU_DEP_4) | instskip(NEXT) | instid1(VALU_DEP_2)
	v_mul_f64_e32 v[20:21], s[28:29], v[38:39]
	v_mul_f64_e32 v[0:1], s[28:29], v[0:1]
	s_delay_alu instid0(VALU_DEP_2) | instskip(NEXT) | instid1(VALU_DEP_2)
	v_fma_f64 v[14:15], v[225:226], s[12:13], v[20:21]
	v_fma_f64 v[22:23], v[24:25], s[30:31], -v[0:1]
	v_fma_f64 v[24:25], v[171:172], s[30:31], -v[20:21]
	v_fma_f64 v[0:1], v[169:170], s[12:13], v[0:1]
	v_add_f64_e64 v[20:21], v[233:234], -v[251:252]
	v_add_f64_e32 v[10:11], v[14:15], v[223:224]
	v_add_f64_e32 v[22:23], v[22:23], v[227:228]
	v_add_f64_e32 v[24:25], v[24:25], v[223:224]
	v_add_f64_e32 v[0:1], v[0:1], v[227:228]
	s_delay_alu instid0(VALU_DEP_4) | instskip(NEXT) | instid1(VALU_DEP_4)
	v_add_f64_e64 v[225:226], v[10:11], -v[2:3]
	v_add_f64_e32 v[215:216], v[18:19], v[22:23]
	s_delay_alu instid0(VALU_DEP_4)
	v_add_f64_e64 v[217:218], v[24:25], -v[16:17]
	v_add_f64_e32 v[221:222], v[16:17], v[24:25]
	v_add_f64_e32 v[223:224], v[4:5], v[0:1]
	v_add_f64_e64 v[14:15], v[0:1], -v[4:5]
	v_add_f64_e32 v[16:17], v[2:3], v[10:11]
	v_add_f64_e64 v[0:1], v[235:236], -v[36:37]
	v_add_f64_e64 v[2:3], v[243:244], -v[239:240]
	;; [unrolled: 1-line block ×13, first 2 shown]
	v_add_f64_e32 v[30:31], v[2:3], v[0:1]
	v_add_f64_e64 v[0:1], v[0:1], -v[4:5]
	v_add_f64_e64 v[2:3], v[4:5], -v[2:3]
	v_add_f64_e32 v[36:37], v[18:19], v[10:11]
	v_add_f64_e64 v[38:39], v[18:19], -v[10:11]
	v_mul_f64_e32 v[169:170], s[12:13], v[8:9]
	v_add_f64_e64 v[10:11], v[10:11], -v[20:21]
	v_mul_f64_e32 v[171:172], s[12:13], v[6:7]
	v_mul_f64_e32 v[12:13], s[28:29], v[12:13]
	;; [unrolled: 1-line block ×3, first 2 shown]
	v_add_f64_e32 v[30:31], v[30:31], v[4:5]
	v_add_f64_e64 v[4:5], v[20:21], -v[18:19]
	v_mul_f64_e32 v[18:19], s[28:29], v[32:33]
	v_add_f64_e32 v[36:37], v[36:37], v[20:21]
	v_mul_f64_e32 v[38:39], s[22:23], v[38:39]
	v_fma_f64 v[169:170], v[22:23], s[20:21], -v[169:170]
	s_mov_b32 s23, 0x3fe11646
	v_fma_f64 v[171:172], v[24:25], s[20:21], -v[171:172]
	v_fma_f64 v[6:7], v[6:7], s[12:13], v[12:13]
	v_fma_f64 v[227:228], v[0:1], s[14:15], -v[34:35]
	v_mul_f64_e32 v[0:1], s[16:17], v[0:1]
	v_fma_f64 v[20:21], v[22:23], s[30:31], -v[18:19]
	v_fma_f64 v[22:23], v[24:25], s[30:31], -v[12:13]
	;; [unrolled: 1-line block ×3, first 2 shown]
	v_mul_f64_e32 v[10:11], s[16:17], v[10:11]
	v_add_f64_e32 v[169:170], v[169:170], v[28:29]
	v_add_f64_e32 v[171:172], v[171:172], v[26:27]
	v_add_f64_e32 v[6:7], v[6:7], v[26:27]
	v_fma_f64 v[227:228], v[30:31], s[24:25], v[227:228]
	v_fma_f64 v[0:1], v[2:3], s[26:27], v[0:1]
	v_add_f64_e32 v[20:21], v[20:21], v[28:29]
	v_add_f64_e32 v[22:23], v[22:23], v[26:27]
	v_fma_f64 v[235:236], v[36:37], s[24:25], v[231:232]
	v_fma_f64 v[10:11], v[4:5], s[26:27], v[10:11]
	v_add_f64_e32 v[233:234], v[227:228], v[171:172]
	v_fma_f64 v[0:1], v[30:31], s[24:25], v[0:1]
	v_add_f64_e64 v[237:238], v[171:172], -v[227:228]
	v_add_f64_e64 v[231:232], v[169:170], -v[235:236]
	v_fma_f64 v[10:11], v[36:37], s[24:25], v[10:11]
	v_add_f64_e32 v[235:236], v[235:236], v[169:170]
	v_add_f64_e64 v[241:242], v[22:23], -v[0:1]
	v_add_f64_e32 v[245:246], v[0:1], v[22:23]
	v_fma_f64 v[0:1], v[2:3], s[34:35], v[34:35]
	v_fma_f64 v[2:3], v[4:5], s[34:35], v[38:39]
	;; [unrolled: 1-line block ×3, first 2 shown]
	v_add_f64_e32 v[239:240], v[10:11], v[20:21]
	v_add_f64_e64 v[243:244], v[20:21], -v[10:11]
	v_fma_f64 v[0:1], v[30:31], s[24:25], v[0:1]
	v_fma_f64 v[2:3], v[36:37], s[24:25], v[2:3]
	v_add_f64_e32 v[4:5], v[4:5], v[28:29]
	s_mov_b32 s25, 0xbfdc38aa
	s_delay_alu instid0(VALU_DEP_3) | instskip(SKIP_1) | instid1(VALU_DEP_3)
	v_add_f64_e64 v[249:250], v[6:7], -v[0:1]
	v_add_f64_e32 v[253:254], v[0:1], v[6:7]
	v_add_f64_e32 v[247:248], v[2:3], v[4:5]
	v_add_f64_e64 v[251:252], v[4:5], -v[2:3]
	ds_store_b128 v167, v[199:202]
	ds_store_b128 v167, v[203:206] offset:896
	ds_store_b128 v167, v[223:226] offset:1792
	;; [unrolled: 1-line block ×13, first 2 shown]
	global_wb scope:SCOPE_SE
	s_wait_dscnt 0x0
	s_barrier_signal -1
	s_barrier_wait -1
	global_inv scope:SCOPE_SE
	global_load_b128 v[199:202], v167, s[8:9] offset:12544
	ds_load_b128 v[203:206], v167
	ds_load_b128 v[207:210], v167 offset:896
	s_clause 0x2
	global_load_b128 v[215:218], v167, s[10:11] offset:6272
	global_load_b128 v[223:226], v167, s[10:11] offset:7168
	;; [unrolled: 1-line block ×3, first 2 shown]
	ds_load_b128 v[219:222], v167 offset:6272
	ds_load_b128 v[227:230], v167 offset:5376
	s_clause 0x1
	global_load_b128 v[231:234], v167, s[10:11] offset:896
	global_load_b128 v[235:238], v167, s[10:11] offset:1792
	s_wait_loadcnt_dscnt 0x503
	v_mul_f64_e32 v[0:1], v[205:206], v[201:202]
	v_mul_f64_e32 v[2:3], v[203:204], v[201:202]
	s_delay_alu instid0(VALU_DEP_2) | instskip(NEXT) | instid1(VALU_DEP_2)
	v_fma_f64 v[201:202], v[203:204], v[199:200], -v[0:1]
	v_fma_f64 v[203:204], v[205:206], v[199:200], v[2:3]
	s_wait_loadcnt_dscnt 0x401
	v_mul_f64_e32 v[0:1], v[221:222], v[217:218]
	v_mul_f64_e32 v[2:3], v[219:220], v[217:218]
	s_delay_alu instid0(VALU_DEP_2) | instskip(NEXT) | instid1(VALU_DEP_2)
	v_fma_f64 v[217:218], v[219:220], v[215:216], -v[0:1]
	v_fma_f64 v[219:220], v[221:222], v[215:216], v[2:3]
	s_wait_loadcnt 0x1
	v_mul_f64_e32 v[0:1], v[209:210], v[233:234]
	v_mul_f64_e32 v[2:3], v[207:208], v[233:234]
	s_delay_alu instid0(VALU_DEP_2) | instskip(NEXT) | instid1(VALU_DEP_2)
	v_fma_f64 v[205:206], v[207:208], v[231:232], -v[0:1]
	v_fma_f64 v[207:208], v[209:210], v[231:232], v[2:3]
	ds_load_b128 v[231:234], v167 offset:7168
	ds_load_b128 v[239:242], v167 offset:8064
	s_wait_dscnt 0x1
	v_mul_f64_e32 v[0:1], v[233:234], v[225:226]
	v_mul_f64_e32 v[2:3], v[231:232], v[225:226]
	s_delay_alu instid0(VALU_DEP_2) | instskip(NEXT) | instid1(VALU_DEP_2)
	v_fma_f64 v[221:222], v[231:232], v[223:224], -v[0:1]
	v_fma_f64 v[223:224], v[233:234], v[223:224], v[2:3]
	ds_load_b128 v[231:234], v167 offset:1792
	ds_load_b128 v[243:246], v167 offset:2688
	s_wait_loadcnt_dscnt 0x1
	v_mul_f64_e32 v[0:1], v[233:234], v[237:238]
	v_mul_f64_e32 v[2:3], v[231:232], v[237:238]
	s_delay_alu instid0(VALU_DEP_2) | instskip(NEXT) | instid1(VALU_DEP_2)
	v_fma_f64 v[231:232], v[231:232], v[235:236], -v[0:1]
	v_fma_f64 v[233:234], v[233:234], v[235:236], v[2:3]
	s_clause 0x3
	global_load_b128 v[235:238], v167, s[10:11] offset:8064
	global_load_b128 v[247:250], v167, s[10:11] offset:8960
	;; [unrolled: 1-line block ×4, first 2 shown]
	s_wait_loadcnt 0x3
	v_mul_f64_e32 v[0:1], v[241:242], v[237:238]
	v_mul_f64_e32 v[2:3], v[239:240], v[237:238]
	s_delay_alu instid0(VALU_DEP_2) | instskip(NEXT) | instid1(VALU_DEP_2)
	v_fma_f64 v[237:238], v[239:240], v[235:236], -v[0:1]
	v_fma_f64 v[239:240], v[241:242], v[235:236], v[2:3]
	s_wait_loadcnt_dscnt 0x100
	v_mul_f64_e32 v[0:1], v[245:246], v[253:254]
	v_mul_f64_e32 v[2:3], v[243:244], v[253:254]
	s_delay_alu instid0(VALU_DEP_2) | instskip(NEXT) | instid1(VALU_DEP_2)
	v_fma_f64 v[241:242], v[243:244], v[251:252], -v[0:1]
	v_fma_f64 v[243:244], v[245:246], v[251:252], v[2:3]
	ds_load_b128 v[251:254], v167 offset:8960
	ds_load_b128 v[0:3], v167 offset:9856
	s_wait_dscnt 0x1
	v_mul_f64_e32 v[4:5], v[253:254], v[249:250]
	v_mul_f64_e32 v[6:7], v[251:252], v[249:250]
	s_delay_alu instid0(VALU_DEP_2) | instskip(NEXT) | instid1(VALU_DEP_2)
	v_fma_f64 v[245:246], v[251:252], v[247:248], -v[4:5]
	v_fma_f64 v[247:248], v[253:254], v[247:248], v[6:7]
	ds_load_b128 v[249:252], v167 offset:3584
	ds_load_b128 v[4:7], v167 offset:4480
	s_wait_loadcnt_dscnt 0x1
	v_mul_f64_e32 v[8:9], v[251:252], v[171:172]
	v_mul_f64_e32 v[10:11], v[249:250], v[171:172]
	s_delay_alu instid0(VALU_DEP_2) | instskip(NEXT) | instid1(VALU_DEP_2)
	v_fma_f64 v[249:250], v[249:250], v[169:170], -v[8:9]
	v_fma_f64 v[251:252], v[251:252], v[169:170], v[10:11]
	s_clause 0x1
	global_load_b128 v[169:172], v167, s[10:11] offset:9856
	global_load_b128 v[8:11], v167, s[10:11] offset:10752
	s_wait_loadcnt 0x1
	v_mul_f64_e32 v[12:13], v[2:3], v[171:172]
	v_mul_f64_e32 v[14:15], v[0:1], v[171:172]
	s_delay_alu instid0(VALU_DEP_2) | instskip(NEXT) | instid1(VALU_DEP_2)
	v_fma_f64 v[16:17], v[0:1], v[169:170], -v[12:13]
	v_fma_f64 v[18:19], v[2:3], v[169:170], v[14:15]
	s_clause 0x1
	global_load_b128 v[169:172], v167, s[10:11] offset:4480
	global_load_b128 v[0:3], v167, s[10:11] offset:5376
	s_wait_loadcnt_dscnt 0x100
	v_mul_f64_e32 v[12:13], v[6:7], v[171:172]
	v_mul_f64_e32 v[14:15], v[4:5], v[171:172]
	s_delay_alu instid0(VALU_DEP_2) | instskip(NEXT) | instid1(VALU_DEP_2)
	v_fma_f64 v[12:13], v[4:5], v[169:170], -v[12:13]
	v_fma_f64 v[14:15], v[6:7], v[169:170], v[14:15]
	ds_load_b128 v[169:172], v167 offset:10752
	ds_load_b128 v[4:7], v167 offset:11648
	s_wait_dscnt 0x1
	v_mul_f64_e32 v[20:21], v[171:172], v[10:11]
	v_mul_f64_e32 v[10:11], v[169:170], v[10:11]
	s_delay_alu instid0(VALU_DEP_2) | instskip(NEXT) | instid1(VALU_DEP_2)
	v_fma_f64 v[169:170], v[169:170], v[8:9], -v[20:21]
	v_fma_f64 v[171:172], v[171:172], v[8:9], v[10:11]
	s_wait_loadcnt 0x0
	v_mul_f64_e32 v[8:9], v[229:230], v[2:3]
	v_mul_f64_e32 v[2:3], v[227:228], v[2:3]
	s_delay_alu instid0(VALU_DEP_2) | instskip(NEXT) | instid1(VALU_DEP_2)
	v_fma_f64 v[8:9], v[227:228], v[0:1], -v[8:9]
	v_fma_f64 v[10:11], v[229:230], v[0:1], v[2:3]
	s_wait_dscnt 0x0
	v_mul_f64_e32 v[0:1], v[6:7], v[213:214]
	v_mul_f64_e32 v[2:3], v[4:5], v[213:214]
	s_delay_alu instid0(VALU_DEP_2) | instskip(NEXT) | instid1(VALU_DEP_2)
	v_fma_f64 v[0:1], v[4:5], v[211:212], -v[0:1]
	v_fma_f64 v[2:3], v[6:7], v[211:212], v[2:3]
	ds_store_b128 v167, v[201:204]
	ds_store_b128 v167, v[205:208] offset:896
	ds_store_b128 v167, v[221:224] offset:7168
	;; [unrolled: 1-line block ×13, first 2 shown]
	global_wb scope:SCOPE_SE
	s_wait_dscnt 0x0
	s_barrier_signal -1
	s_barrier_wait -1
	global_inv scope:SCOPE_SE
	ds_load_b128 v[0:3], v167 offset:6272
	ds_load_b128 v[4:7], v167
	ds_load_b128 v[8:11], v167 offset:896
	ds_load_b128 v[12:15], v167 offset:5376
	;; [unrolled: 1-line block ×12, first 2 shown]
	global_wb scope:SCOPE_SE
	s_wait_dscnt 0x0
	s_barrier_signal -1
	s_barrier_wait -1
	global_inv scope:SCOPE_SE
	v_add_f64_e64 v[0:1], v[4:5], -v[0:1]
	v_add_f64_e64 v[2:3], v[6:7], -v[2:3]
	;; [unrolled: 1-line block ×4, first 2 shown]
	s_delay_alu instid0(VALU_DEP_4) | instskip(NEXT) | instid1(VALU_DEP_4)
	v_fma_f64 v[4:5], v[4:5], 2.0, -v[0:1]
	v_fma_f64 v[6:7], v[6:7], 2.0, -v[2:3]
	s_delay_alu instid0(VALU_DEP_4) | instskip(NEXT) | instid1(VALU_DEP_4)
	v_fma_f64 v[8:9], v[8:9], 2.0, -v[16:17]
	v_fma_f64 v[10:11], v[10:11], 2.0, -v[18:19]
	ds_store_b128 v164, v[0:3] offset:16
	ds_store_b128 v164, v[4:7]
	ds_store_b128 v164, v[8:11] offset:1792
	s_clause 0x1
	scratch_load_b32 v0, off, off offset:96 th:TH_LOAD_LU
	scratch_load_b32 v8, off, off offset:92 th:TH_LOAD_LU
	v_add_f64_e64 v[2:3], v[201:202], -v[171:172]
	s_delay_alu instid0(VALU_DEP_1) | instskip(SKIP_3) | instid1(VALU_DEP_1)
	v_fma_f64 v[6:7], v[201:202], 2.0, -v[2:3]
	s_wait_loadcnt 0x1
	ds_store_b128 v0, v[16:19] offset:16
	v_add_f64_e64 v[0:1], v[199:200], -v[169:170]
	v_fma_f64 v[4:5], v[199:200], 2.0, -v[0:1]
	ds_store_b128 v168, v[4:7] offset:3584
	scratch_load_b32 v4, off, off offset:88 th:TH_LOAD_LU ; 4-byte Folded Reload
	s_wait_loadcnt 0x1
	ds_store_b128 v8, v[0:3] offset:16
	v_add_f64_e64 v[0:1], v[203:204], -v[207:208]
	v_add_f64_e64 v[2:3], v[205:206], -v[209:210]
	s_delay_alu instid0(VALU_DEP_2) | instskip(NEXT) | instid1(VALU_DEP_2)
	v_fma_f64 v[8:9], v[203:204], 2.0, -v[0:1]
	v_fma_f64 v[10:11], v[205:206], 2.0, -v[2:3]
	ds_store_b128 v168, v[8:11] offset:5376
	scratch_load_b32 v8, off, off offset:84 th:TH_LOAD_LU ; 4-byte Folded Reload
	s_wait_loadcnt 0x1
	ds_store_b128 v4, v[0:3] offset:16
	v_add_f64_e64 v[0:1], v[215:216], -v[211:212]
	v_add_f64_e64 v[2:3], v[217:218], -v[213:214]
	s_delay_alu instid0(VALU_DEP_2) | instskip(NEXT) | instid1(VALU_DEP_2)
	v_fma_f64 v[4:5], v[215:216], 2.0, -v[0:1]
	;; [unrolled: 9-line block ×3, first 2 shown]
	v_fma_f64 v[10:11], v[221:222], 2.0, -v[2:3]
	s_wait_loadcnt 0x0
	ds_store_b128 v4, v[0:3] offset:16
	v_add_f64_e64 v[0:1], v[12:13], -v[227:228]
	v_add_f64_e64 v[2:3], v[14:15], -v[229:230]
	s_delay_alu instid0(VALU_DEP_2) | instskip(NEXT) | instid1(VALU_DEP_2)
	v_fma_f64 v[4:5], v[12:13], 2.0, -v[0:1]
	v_fma_f64 v[6:7], v[14:15], 2.0, -v[2:3]
	ds_store_b128 v168, v[8:11] offset:8960
	ds_store_b128 v168, v[4:7] offset:10752
	scratch_load_b32 v4, off, off offset:76 th:TH_LOAD_LU ; 4-byte Folded Reload
	s_wait_loadcnt 0x0
	ds_store_b128 v4, v[0:3] offset:16
	global_wb scope:SCOPE_SE
	s_wait_dscnt 0x0
	s_barrier_signal -1
	s_barrier_wait -1
	global_inv scope:SCOPE_SE
	ds_load_b128 v[0:3], v167 offset:6272
	ds_load_b128 v[4:7], v167 offset:5376
	s_wait_dscnt 0x1
	v_mul_f64_e32 v[8:9], v[58:59], v[2:3]
	s_delay_alu instid0(VALU_DEP_1) | instskip(SKIP_1) | instid1(VALU_DEP_1)
	v_fma_f64 v[12:13], v[56:57], v[0:1], v[8:9]
	v_mul_f64_e32 v[0:1], v[58:59], v[0:1]
	v_fma_f64 v[14:15], v[56:57], v[2:3], -v[0:1]
	ds_load_b128 v[0:3], v167 offset:7168
	ds_load_b128 v[8:11], v167 offset:8064
	s_wait_dscnt 0x1
	v_mul_f64_e32 v[16:17], v[58:59], v[2:3]
	s_delay_alu instid0(VALU_DEP_1) | instskip(SKIP_1) | instid1(VALU_DEP_1)
	v_fma_f64 v[20:21], v[56:57], v[0:1], v[16:17]
	v_mul_f64_e32 v[0:1], v[58:59], v[0:1]
	v_fma_f64 v[22:23], v[56:57], v[2:3], -v[0:1]
	s_wait_dscnt 0x0
	v_mul_f64_e32 v[0:1], v[58:59], v[10:11]
	s_delay_alu instid0(VALU_DEP_1) | instskip(SKIP_1) | instid1(VALU_DEP_1)
	v_fma_f64 v[24:25], v[56:57], v[8:9], v[0:1]
	v_mul_f64_e32 v[0:1], v[58:59], v[8:9]
	v_fma_f64 v[26:27], v[56:57], v[10:11], -v[0:1]
	ds_load_b128 v[0:3], v167 offset:8960
	ds_load_b128 v[8:11], v167 offset:9856
	s_wait_dscnt 0x1
	v_mul_f64_e32 v[16:17], v[58:59], v[2:3]
	s_delay_alu instid0(VALU_DEP_1) | instskip(SKIP_1) | instid1(VALU_DEP_1)
	v_fma_f64 v[28:29], v[56:57], v[0:1], v[16:17]
	v_mul_f64_e32 v[0:1], v[58:59], v[0:1]
	v_fma_f64 v[30:31], v[56:57], v[2:3], -v[0:1]
	;; [unrolled: 14-line block ×3, first 2 shown]
	s_wait_dscnt 0x0
	v_mul_f64_e32 v[0:1], v[58:59], v[10:11]
	s_delay_alu instid0(VALU_DEP_1) | instskip(SKIP_1) | instid1(VALU_DEP_1)
	v_fma_f64 v[203:204], v[56:57], v[8:9], v[0:1]
	v_mul_f64_e32 v[0:1], v[58:59], v[8:9]
	v_fma_f64 v[205:206], v[56:57], v[10:11], -v[0:1]
	ds_load_b128 v[0:3], v167
	ds_load_b128 v[8:11], v167 offset:896
	ds_load_b128 v[16:19], v167 offset:1792
	;; [unrolled: 1-line block ×5, first 2 shown]
	global_wb scope:SCOPE_SE
	s_wait_dscnt 0x0
	s_barrier_signal -1
	s_barrier_wait -1
	global_inv scope:SCOPE_SE
	scratch_load_b32 v164, off, off offset:124 th:TH_LOAD_LU ; 4-byte Folded Reload
	v_add_f64_e64 v[12:13], v[0:1], -v[12:13]
	v_add_f64_e64 v[14:15], v[2:3], -v[14:15]
	s_delay_alu instid0(VALU_DEP_2) | instskip(NEXT) | instid1(VALU_DEP_2)
	v_fma_f64 v[0:1], v[0:1], 2.0, -v[12:13]
	v_fma_f64 v[2:3], v[2:3], 2.0, -v[14:15]
	s_wait_loadcnt 0x0
	ds_store_b128 v164, v[12:15] offset:32
	ds_store_b128 v164, v[0:3]
	scratch_load_b32 v12, off, off offset:120 th:TH_LOAD_LU ; 4-byte Folded Reload
	v_add_f64_e64 v[0:1], v[8:9], -v[20:21]
	v_add_f64_e64 v[2:3], v[10:11], -v[22:23]
	s_delay_alu instid0(VALU_DEP_2) | instskip(NEXT) | instid1(VALU_DEP_2)
	v_fma_f64 v[8:9], v[8:9], 2.0, -v[0:1]
	v_fma_f64 v[10:11], v[10:11], 2.0, -v[2:3]
	s_wait_loadcnt 0x0
	ds_store_b128 v12, v[8:11]
	ds_store_b128 v12, v[0:3] offset:32
	scratch_load_b32 v12, off, off offset:116 th:TH_LOAD_LU ; 4-byte Folded Reload
	v_add_f64_e64 v[0:1], v[16:17], -v[24:25]
	v_add_f64_e64 v[2:3], v[18:19], -v[26:27]
	s_delay_alu instid0(VALU_DEP_2) | instskip(NEXT) | instid1(VALU_DEP_2)
	v_fma_f64 v[8:9], v[16:17], 2.0, -v[0:1]
	v_fma_f64 v[10:11], v[18:19], 2.0, -v[2:3]
	s_wait_loadcnt 0x0
	ds_store_b128 v12, v[8:11]
	ds_store_b128 v12, v[0:3] offset:32
	;; [unrolled: 9-line block ×6, first 2 shown]
	global_wb scope:SCOPE_SE
	s_wait_dscnt 0x0
	s_barrier_signal -1
	s_barrier_wait -1
	global_inv scope:SCOPE_SE
	ds_load_b128 v[0:3], v167 offset:6272
	ds_load_b128 v[4:7], v167 offset:5376
	s_wait_dscnt 0x1
	v_mul_f64_e32 v[8:9], v[62:63], v[2:3]
	s_delay_alu instid0(VALU_DEP_1) | instskip(SKIP_1) | instid1(VALU_DEP_1)
	v_fma_f64 v[12:13], v[60:61], v[0:1], v[8:9]
	v_mul_f64_e32 v[0:1], v[62:63], v[0:1]
	v_fma_f64 v[14:15], v[60:61], v[2:3], -v[0:1]
	ds_load_b128 v[0:3], v167 offset:7168
	ds_load_b128 v[8:11], v167 offset:8064
	s_wait_dscnt 0x1
	v_mul_f64_e32 v[16:17], v[62:63], v[2:3]
	s_delay_alu instid0(VALU_DEP_1) | instskip(SKIP_1) | instid1(VALU_DEP_1)
	v_fma_f64 v[20:21], v[60:61], v[0:1], v[16:17]
	v_mul_f64_e32 v[0:1], v[62:63], v[0:1]
	v_fma_f64 v[22:23], v[60:61], v[2:3], -v[0:1]
	s_wait_dscnt 0x0
	v_mul_f64_e32 v[0:1], v[62:63], v[10:11]
	s_delay_alu instid0(VALU_DEP_1) | instskip(SKIP_1) | instid1(VALU_DEP_1)
	v_fma_f64 v[24:25], v[60:61], v[8:9], v[0:1]
	v_mul_f64_e32 v[0:1], v[62:63], v[8:9]
	v_fma_f64 v[26:27], v[60:61], v[10:11], -v[0:1]
	ds_load_b128 v[0:3], v167 offset:8960
	ds_load_b128 v[8:11], v167 offset:9856
	s_wait_dscnt 0x1
	v_mul_f64_e32 v[16:17], v[62:63], v[2:3]
	s_delay_alu instid0(VALU_DEP_1) | instskip(SKIP_1) | instid1(VALU_DEP_1)
	v_fma_f64 v[28:29], v[60:61], v[0:1], v[16:17]
	v_mul_f64_e32 v[0:1], v[62:63], v[0:1]
	v_fma_f64 v[30:31], v[60:61], v[2:3], -v[0:1]
	;; [unrolled: 14-line block ×3, first 2 shown]
	s_wait_dscnt 0x0
	v_mul_f64_e32 v[0:1], v[62:63], v[10:11]
	s_delay_alu instid0(VALU_DEP_1) | instskip(SKIP_1) | instid1(VALU_DEP_1)
	v_fma_f64 v[199:200], v[60:61], v[8:9], v[0:1]
	v_mul_f64_e32 v[0:1], v[62:63], v[8:9]
	v_fma_f64 v[201:202], v[60:61], v[10:11], -v[0:1]
	ds_load_b128 v[0:3], v167
	ds_load_b128 v[8:11], v167 offset:896
	ds_load_b128 v[16:19], v167 offset:1792
	;; [unrolled: 1-line block ×5, first 2 shown]
	global_wb scope:SCOPE_SE
	s_wait_dscnt 0x0
	s_barrier_signal -1
	s_barrier_wait -1
	global_inv scope:SCOPE_SE
	scratch_load_b32 v164, off, off offset:152 th:TH_LOAD_LU ; 4-byte Folded Reload
	v_add_f64_e64 v[12:13], v[0:1], -v[12:13]
	v_add_f64_e64 v[14:15], v[2:3], -v[14:15]
	s_delay_alu instid0(VALU_DEP_2) | instskip(NEXT) | instid1(VALU_DEP_2)
	v_fma_f64 v[0:1], v[0:1], 2.0, -v[12:13]
	v_fma_f64 v[2:3], v[2:3], 2.0, -v[14:15]
	s_wait_loadcnt 0x0
	ds_store_b128 v164, v[12:15] offset:64
	ds_store_b128 v164, v[0:3]
	scratch_load_b32 v12, off, off offset:148 th:TH_LOAD_LU ; 4-byte Folded Reload
	v_add_f64_e64 v[0:1], v[8:9], -v[20:21]
	v_add_f64_e64 v[2:3], v[10:11], -v[22:23]
	s_delay_alu instid0(VALU_DEP_2) | instskip(NEXT) | instid1(VALU_DEP_2)
	v_fma_f64 v[8:9], v[8:9], 2.0, -v[0:1]
	v_fma_f64 v[10:11], v[10:11], 2.0, -v[2:3]
	s_wait_loadcnt 0x0
	ds_store_b128 v12, v[8:11]
	ds_store_b128 v12, v[0:3] offset:64
	scratch_load_b32 v12, off, off offset:144 th:TH_LOAD_LU ; 4-byte Folded Reload
	v_add_f64_e64 v[0:1], v[16:17], -v[24:25]
	v_add_f64_e64 v[2:3], v[18:19], -v[26:27]
	s_delay_alu instid0(VALU_DEP_2) | instskip(NEXT) | instid1(VALU_DEP_2)
	v_fma_f64 v[8:9], v[16:17], 2.0, -v[0:1]
	v_fma_f64 v[10:11], v[18:19], 2.0, -v[2:3]
	s_wait_loadcnt 0x0
	ds_store_b128 v12, v[8:11]
	ds_store_b128 v12, v[0:3] offset:64
	;; [unrolled: 9-line block ×6, first 2 shown]
	global_wb scope:SCOPE_SE
	s_wait_dscnt 0x0
	s_barrier_signal -1
	s_barrier_wait -1
	global_inv scope:SCOPE_SE
	ds_load_b128 v[0:3], v167 offset:6272
	ds_load_b128 v[4:7], v167 offset:5376
	s_wait_dscnt 0x1
	v_mul_f64_e32 v[8:9], v[66:67], v[2:3]
	s_delay_alu instid0(VALU_DEP_1) | instskip(SKIP_1) | instid1(VALU_DEP_1)
	v_fma_f64 v[12:13], v[64:65], v[0:1], v[8:9]
	v_mul_f64_e32 v[0:1], v[66:67], v[0:1]
	v_fma_f64 v[14:15], v[64:65], v[2:3], -v[0:1]
	ds_load_b128 v[0:3], v167 offset:7168
	ds_load_b128 v[8:11], v167 offset:8064
	s_wait_dscnt 0x1
	v_mul_f64_e32 v[16:17], v[66:67], v[2:3]
	s_delay_alu instid0(VALU_DEP_1) | instskip(SKIP_1) | instid1(VALU_DEP_1)
	v_fma_f64 v[20:21], v[64:65], v[0:1], v[16:17]
	v_mul_f64_e32 v[0:1], v[66:67], v[0:1]
	v_fma_f64 v[22:23], v[64:65], v[2:3], -v[0:1]
	s_wait_dscnt 0x0
	v_mul_f64_e32 v[0:1], v[66:67], v[10:11]
	s_delay_alu instid0(VALU_DEP_1) | instskip(SKIP_1) | instid1(VALU_DEP_1)
	v_fma_f64 v[24:25], v[64:65], v[8:9], v[0:1]
	v_mul_f64_e32 v[0:1], v[66:67], v[8:9]
	v_fma_f64 v[26:27], v[64:65], v[10:11], -v[0:1]
	ds_load_b128 v[0:3], v167 offset:8960
	ds_load_b128 v[8:11], v167 offset:9856
	s_wait_dscnt 0x1
	v_mul_f64_e32 v[16:17], v[66:67], v[2:3]
	s_delay_alu instid0(VALU_DEP_1) | instskip(SKIP_1) | instid1(VALU_DEP_1)
	v_fma_f64 v[28:29], v[64:65], v[0:1], v[16:17]
	v_mul_f64_e32 v[0:1], v[66:67], v[0:1]
	v_fma_f64 v[30:31], v[64:65], v[2:3], -v[0:1]
	;; [unrolled: 14-line block ×3, first 2 shown]
	s_wait_dscnt 0x0
	v_mul_f64_e32 v[0:1], v[66:67], v[10:11]
	s_delay_alu instid0(VALU_DEP_1) | instskip(SKIP_1) | instid1(VALU_DEP_1)
	v_fma_f64 v[168:169], v[64:65], v[8:9], v[0:1]
	v_mul_f64_e32 v[0:1], v[66:67], v[8:9]
	v_fma_f64 v[170:171], v[64:65], v[10:11], -v[0:1]
	ds_load_b128 v[0:3], v167
	ds_load_b128 v[8:11], v167 offset:896
	ds_load_b128 v[16:19], v167 offset:1792
	;; [unrolled: 1-line block ×5, first 2 shown]
	global_wb scope:SCOPE_SE
	s_wait_dscnt 0x0
	s_barrier_signal -1
	s_barrier_wait -1
	global_inv scope:SCOPE_SE
	v_add_f64_e64 v[12:13], v[0:1], -v[12:13]
	v_add_f64_e64 v[14:15], v[2:3], -v[14:15]
	s_delay_alu instid0(VALU_DEP_2) | instskip(NEXT) | instid1(VALU_DEP_2)
	v_fma_f64 v[0:1], v[0:1], 2.0, -v[12:13]
	v_fma_f64 v[2:3], v[2:3], 2.0, -v[14:15]
	ds_store_b128 v255, v[12:15] offset:128
	ds_store_b128 v255, v[0:3]
	v_add_f64_e64 v[0:1], v[8:9], -v[20:21]
	v_add_f64_e64 v[2:3], v[10:11], -v[22:23]
	s_delay_alu instid0(VALU_DEP_2) | instskip(NEXT) | instid1(VALU_DEP_2)
	v_fma_f64 v[8:9], v[8:9], 2.0, -v[0:1]
	v_fma_f64 v[10:11], v[10:11], 2.0, -v[2:3]
	ds_store_b128 v166, v[8:11]
	ds_store_b128 v166, v[0:3] offset:128
	scratch_load_b32 v12, off, off offset:172 th:TH_LOAD_LU ; 4-byte Folded Reload
	v_add_f64_e64 v[0:1], v[16:17], -v[24:25]
	v_add_f64_e64 v[2:3], v[18:19], -v[26:27]
	s_delay_alu instid0(VALU_DEP_2) | instskip(NEXT) | instid1(VALU_DEP_2)
	v_fma_f64 v[8:9], v[16:17], 2.0, -v[0:1]
	v_fma_f64 v[10:11], v[18:19], 2.0, -v[2:3]
	s_wait_loadcnt 0x0
	ds_store_b128 v12, v[8:11]
	ds_store_b128 v12, v[0:3] offset:128
	scratch_load_b32 v12, off, off offset:168 th:TH_LOAD_LU ; 4-byte Folded Reload
	v_add_f64_e64 v[0:1], v[56:57], -v[28:29]
	v_add_f64_e64 v[2:3], v[58:59], -v[30:31]
	s_delay_alu instid0(VALU_DEP_2) | instskip(NEXT) | instid1(VALU_DEP_2)
	v_fma_f64 v[8:9], v[56:57], 2.0, -v[0:1]
	v_fma_f64 v[10:11], v[58:59], 2.0, -v[2:3]
	s_wait_loadcnt 0x0
	;; [unrolled: 9-line block ×5, first 2 shown]
	ds_store_b128 v8, v[4:7]
	ds_store_b128 v8, v[0:3] offset:128
	global_wb scope:SCOPE_SE
	s_wait_dscnt 0x0
	s_barrier_signal -1
	s_barrier_wait -1
	global_inv scope:SCOPE_SE
	ds_load_b128 v[0:3], v167 offset:1792
	ds_load_b128 v[4:7], v167 offset:2688
	s_wait_dscnt 0x1
	v_mul_f64_e32 v[8:9], v[70:71], v[2:3]
	s_delay_alu instid0(VALU_DEP_1) | instskip(SKIP_1) | instid1(VALU_DEP_1)
	v_fma_f64 v[20:21], v[68:69], v[0:1], v[8:9]
	v_mul_f64_e32 v[0:1], v[70:71], v[0:1]
	v_fma_f64 v[22:23], v[68:69], v[2:3], -v[0:1]
	ds_load_b128 v[0:3], v167 offset:3584
	ds_load_b128 v[8:11], v167 offset:4480
	s_wait_dscnt 0x1
	v_mul_f64_e32 v[12:13], v[74:75], v[2:3]
	s_delay_alu instid0(VALU_DEP_1) | instskip(SKIP_1) | instid1(VALU_DEP_1)
	v_fma_f64 v[24:25], v[72:73], v[0:1], v[12:13]
	v_mul_f64_e32 v[0:1], v[74:75], v[0:1]
	v_fma_f64 v[26:27], v[72:73], v[2:3], -v[0:1]
	ds_load_b128 v[0:3], v167 offset:10752
	ds_load_b128 v[12:15], v167 offset:11648
	s_wait_dscnt 0x1
	v_mul_f64_e32 v[16:17], v[90:91], v[2:3]
	s_delay_alu instid0(VALU_DEP_1) | instskip(SKIP_1) | instid1(VALU_DEP_2)
	v_fma_f64 v[28:29], v[88:89], v[0:1], v[16:17]
	v_mul_f64_e32 v[0:1], v[90:91], v[0:1]
	v_add_f64_e32 v[36:37], v[20:21], v[28:29]
	s_delay_alu instid0(VALU_DEP_2)
	v_fma_f64 v[30:31], v[88:89], v[2:3], -v[0:1]
	ds_load_b128 v[0:3], v167 offset:8960
	ds_load_b128 v[16:19], v167 offset:9856
	v_add_f64_e64 v[20:21], v[20:21], -v[28:29]
	s_wait_dscnt 0x1
	v_mul_f64_e32 v[32:33], v[78:79], v[2:3]
	s_delay_alu instid0(VALU_DEP_1) | instskip(SKIP_1) | instid1(VALU_DEP_1)
	v_fma_f64 v[32:33], v[76:77], v[0:1], v[32:33]
	v_mul_f64_e32 v[0:1], v[78:79], v[0:1]
	v_fma_f64 v[34:35], v[76:77], v[2:3], -v[0:1]
	v_mul_f64_e32 v[0:1], v[106:107], v[6:7]
	s_delay_alu instid0(VALU_DEP_1) | instskip(SKIP_1) | instid1(VALU_DEP_1)
	v_fma_f64 v[58:59], v[104:105], v[4:5], v[0:1]
	v_mul_f64_e32 v[0:1], v[106:107], v[4:5]
	v_fma_f64 v[56:57], v[104:105], v[6:7], -v[0:1]
	;; [unrolled: 5-line block ×4, first 2 shown]
	s_wait_dscnt 0x0
	v_mul_f64_e32 v[0:1], v[102:103], v[18:19]
	s_delay_alu instid0(VALU_DEP_1) | instskip(SKIP_1) | instid1(VALU_DEP_1)
	v_fma_f64 v[70:71], v[100:101], v[16:17], v[0:1]
	v_mul_f64_e32 v[0:1], v[102:103], v[16:17]
	v_fma_f64 v[68:69], v[100:101], v[18:19], -v[0:1]
	ds_load_b128 v[0:3], v167 offset:5376
	ds_load_b128 v[4:7], v167 offset:6272
	s_wait_dscnt 0x1
	v_mul_f64_e32 v[8:9], v[94:95], v[2:3]
	s_delay_alu instid0(VALU_DEP_1) | instskip(SKIP_1) | instid1(VALU_DEP_1)
	v_fma_f64 v[12:13], v[92:93], v[0:1], v[8:9]
	v_mul_f64_e32 v[0:1], v[94:95], v[0:1]
	v_fma_f64 v[14:15], v[92:93], v[2:3], -v[0:1]
	ds_load_b128 v[0:3], v167 offset:7168
	ds_load_b128 v[8:11], v167 offset:8064
	s_wait_dscnt 0x1
	v_mul_f64_e32 v[16:17], v[86:87], v[2:3]
	s_delay_alu instid0(VALU_DEP_1) | instskip(SKIP_2) | instid1(VALU_DEP_3)
	v_fma_f64 v[16:17], v[84:85], v[0:1], v[16:17]
	v_mul_f64_e32 v[0:1], v[86:87], v[0:1]
	v_add_f64_e32 v[86:87], v[26:27], v[34:35]
	v_add_f64_e32 v[38:39], v[12:13], v[16:17]
	s_delay_alu instid0(VALU_DEP_3)
	v_fma_f64 v[18:19], v[84:85], v[2:3], -v[0:1]
	v_mul_f64_e32 v[0:1], v[118:119], v[6:7]
	v_add_f64_e32 v[84:85], v[22:23], v[30:31]
	v_add_f64_e64 v[16:17], v[16:17], -v[12:13]
	v_add_f64_e64 v[12:13], v[26:27], -v[34:35]
	;; [unrolled: 1-line block ×3, first 2 shown]
	v_add_f64_e32 v[88:89], v[14:15], v[18:19]
	v_fma_f64 v[74:75], v[116:117], v[4:5], v[0:1]
	v_mul_f64_e32 v[0:1], v[118:119], v[4:5]
	v_add_f64_e64 v[18:19], v[18:19], -v[14:15]
	v_add_f64_e64 v[30:31], v[12:13], -v[22:23]
	;; [unrolled: 1-line block ×3, first 2 shown]
	s_delay_alu instid0(VALU_DEP_4) | instskip(SKIP_4) | instid1(VALU_DEP_3)
	v_fma_f64 v[72:73], v[116:117], v[6:7], -v[0:1]
	s_wait_dscnt 0x0
	v_mul_f64_e32 v[0:1], v[114:115], v[10:11]
	v_add_f64_e64 v[28:29], v[18:19], -v[12:13]
	v_add_f64_e32 v[12:13], v[18:19], v[12:13]
	v_fma_f64 v[78:79], v[112:113], v[8:9], v[0:1]
	v_mul_f64_e32 v[0:1], v[114:115], v[8:9]
	v_add_f64_e32 v[8:9], v[24:25], v[32:33]
	v_add_f64_e64 v[24:25], v[24:25], -v[32:33]
	s_wait_alu 0xfffe
	v_mul_f64_e32 v[28:29], s[22:23], v[28:29]
	v_add_f64_e32 v[96:97], v[12:13], v[22:23]
	v_add_f64_e64 v[22:23], v[22:23], -v[18:19]
	v_mul_f64_e32 v[18:19], s[14:15], v[30:31]
	v_mul_f64_e32 v[12:13], s[12:13], v[92:93]
	v_fma_f64 v[76:77], v[112:113], v[10:11], -v[0:1]
	v_add_f64_e32 v[0:1], v[8:9], v[36:37]
	v_add_f64_e64 v[14:15], v[16:17], -v[24:25]
	v_add_f64_e64 v[26:27], v[24:25], -v[20:21]
	v_add_f64_e32 v[24:25], v[16:17], v[24:25]
	v_add_f64_e64 v[32:33], v[38:39], -v[8:9]
	v_add_f64_e64 v[34:35], v[8:9], -v[36:37]
	;; [unrolled: 1-line block ×3, first 2 shown]
	v_fma_f64 v[18:19], v[22:23], s[34:35], v[18:19]
	v_fma_f64 v[22:23], v[22:23], s[26:27], v[28:29]
	v_add_f64_e32 v[10:11], v[38:39], v[0:1]
	v_add_f64_e32 v[0:1], v[86:87], v[84:85]
	v_mul_f64_e32 v[94:95], s[22:23], v[14:15]
	v_add_f64_e32 v[24:25], v[24:25], v[20:21]
	v_add_f64_e64 v[38:39], v[84:85], -v[88:89]
	v_mul_f64_e32 v[8:9], s[12:13], v[32:33]
	v_add_f64_e64 v[20:21], v[20:21], -v[16:17]
	v_mul_f64_e32 v[16:17], s[14:15], v[26:27]
	v_add_f64_e64 v[86:87], v[86:87], -v[84:85]
	v_fma_f64 v[22:23], v[96:97], s[24:25], v[22:23]
	v_fma_f64 v[84:85], v[96:97], s[24:25], v[18:19]
	v_add_f64_e32 v[90:91], v[88:89], v[0:1]
	ds_load_b128 v[0:3], v167
	ds_load_b128 v[4:7], v167 offset:896
	global_wb scope:SCOPE_SE
	s_wait_dscnt 0x0
	s_barrier_signal -1
	v_fma_f64 v[8:9], v[34:35], s[20:21], -v[8:9]
	s_barrier_wait -1
	v_fma_f64 v[16:17], v[20:21], s[34:35], v[16:17]
	v_fma_f64 v[20:21], v[20:21], s[26:27], v[94:95]
	v_fma_f64 v[12:13], v[86:87], s[20:21], -v[12:13]
	global_inv scope:SCOPE_SE
	v_add_f64_e32 v[0:1], v[0:1], v[10:11]
	v_add_f64_e32 v[2:3], v[2:3], v[90:91]
	v_fma_f64 v[20:21], v[24:25], s[24:25], v[20:21]
	s_delay_alu instid0(VALU_DEP_3) | instskip(SKIP_3) | instid1(VALU_DEP_4)
	v_fma_f64 v[98:99], v[10:11], s[18:19], v[0:1]
	v_fma_f64 v[10:11], v[26:27], s[16:17], -v[94:95]
	v_mul_f64_e32 v[26:27], s[28:29], v[36:37]
	v_fma_f64 v[90:91], v[90:91], s[18:19], v[2:3]
	v_add_f64_e32 v[102:103], v[8:9], v[98:99]
	s_delay_alu instid0(VALU_DEP_4)
	v_fma_f64 v[14:15], v[24:25], s[24:25], v[10:11]
	v_fma_f64 v[10:11], v[30:31], s[16:17], -v[28:29]
	v_mul_f64_e32 v[30:31], s[28:29], v[38:39]
	v_fma_f64 v[34:35], v[34:35], s[30:31], -v[26:27]
	v_fma_f64 v[26:27], v[32:33], s[12:13], v[26:27]
	v_fma_f64 v[38:39], v[24:25], s[24:25], v[16:17]
	v_add_f64_e32 v[104:105], v[12:13], v[90:91]
	v_fma_f64 v[100:101], v[96:97], s[24:25], v[10:11]
	v_fma_f64 v[28:29], v[92:93], s[12:13], v[30:31]
	v_fma_f64 v[36:37], v[86:87], s[30:31], -v[30:31]
	v_add_f64_e32 v[24:25], v[26:27], v[98:99]
	v_add_f64_e32 v[34:35], v[34:35], v[98:99]
	v_add_f64_e64 v[30:31], v[56:57], -v[64:65]
	v_add_f64_e32 v[10:11], v[14:15], v[104:105]
	v_add_f64_e64 v[14:15], v[104:105], -v[14:15]
	v_add_f64_e64 v[8:9], v[102:103], -v[100:101]
	v_add_f64_e32 v[26:27], v[28:29], v[90:91]
	v_add_f64_e32 v[36:37], v[36:37], v[90:91]
	;; [unrolled: 1-line block ×5, first 2 shown]
	v_add_f64_e64 v[84:85], v[34:35], -v[84:85]
	v_add_f64_e64 v[92:93], v[24:25], -v[22:23]
	;; [unrolled: 1-line block ×6, first 2 shown]
	v_add_f64_e32 v[86:87], v[38:39], v[36:37]
	v_add_f64_e32 v[94:95], v[20:21], v[26:27]
	ds_store_b128 v198, v[0:3]
	ds_store_b128 v198, v[88:91] offset:256
	ds_store_b128 v198, v[16:19] offset:512
	;; [unrolled: 1-line block ×6, first 2 shown]
	v_add_f64_e32 v[12:13], v[58:59], v[66:67]
	v_add_f64_e32 v[8:9], v[62:63], v[70:71]
	v_add_f64_e32 v[14:15], v[74:75], v[78:79]
	v_add_f64_e32 v[16:17], v[56:57], v[64:65]
	v_add_f64_e32 v[18:19], v[60:61], v[68:69]
	v_add_f64_e32 v[20:21], v[72:73], v[76:77]
	v_add_f64_e64 v[26:27], v[58:59], -v[66:67]
	v_add_f64_e32 v[0:1], v[8:9], v[12:13]
	v_add_f64_e64 v[56:57], v[14:15], -v[8:9]
	v_add_f64_e64 v[58:59], v[8:9], -v[12:13]
	;; [unrolled: 1-line block ×3, first 2 shown]
	s_delay_alu instid0(VALU_DEP_4) | instskip(SKIP_2) | instid1(VALU_DEP_2)
	v_add_f64_e32 v[10:11], v[14:15], v[0:1]
	v_add_f64_e32 v[0:1], v[18:19], v[16:17]
	v_add_f64_e64 v[14:15], v[16:17], -v[20:21]
	v_add_f64_e32 v[22:23], v[20:21], v[0:1]
	s_delay_alu instid0(VALU_DEP_4) | instskip(SKIP_1) | instid1(VALU_DEP_3)
	v_add_f64_e32 v[0:1], v[4:5], v[10:11]
	v_add_f64_e64 v[4:5], v[62:63], -v[70:71]
	v_add_f64_e32 v[2:3], v[6:7], v[22:23]
	v_add_f64_e64 v[6:7], v[60:61], -v[68:69]
	s_delay_alu instid0(VALU_DEP_3)
	v_add_f64_e64 v[34:35], v[4:5], -v[26:27]
	v_add_f64_e64 v[60:61], v[20:21], -v[18:19]
	;; [unrolled: 1-line block ×3, first 2 shown]
	v_add_f64_e32 v[4:5], v[24:25], v[4:5]
	v_add_f64_e64 v[18:19], v[18:19], -v[16:17]
	v_add_f64_e64 v[20:21], v[26:27], -v[24:25]
	;; [unrolled: 1-line block ×3, first 2 shown]
	v_fma_f64 v[66:67], v[10:11], s[18:19], v[0:1]
	v_fma_f64 v[22:23], v[22:23], s[18:19], v[2:3]
	v_add_f64_e64 v[36:37], v[28:29], -v[6:7]
	v_add_f64_e64 v[38:39], v[6:7], -v[30:31]
	v_add_f64_e32 v[6:7], v[28:29], v[6:7]
	v_mul_f64_e32 v[16:17], s[14:15], v[34:35]
	v_add_f64_e32 v[62:63], v[4:5], v[26:27]
	v_mul_f64_e32 v[28:29], s[28:29], v[12:13]
	v_mul_f64_e32 v[32:33], s[22:23], v[32:33]
	;; [unrolled: 1-line block ×5, first 2 shown]
	v_add_f64_e32 v[64:65], v[6:7], v[30:31]
	v_mul_f64_e32 v[6:7], s[12:13], v[60:61]
	v_mul_f64_e32 v[30:31], s[28:29], v[14:15]
	v_fma_f64 v[12:13], v[20:21], s[34:35], v[16:17]
	v_fma_f64 v[8:9], v[34:35], s[16:17], -v[32:33]
	v_fma_f64 v[16:17], v[58:59], s[30:31], -v[28:29]
	v_fma_f64 v[20:21], v[20:21], s[26:27], v[32:33]
	v_fma_f64 v[4:5], v[58:59], s[20:21], -v[4:5]
	v_fma_f64 v[14:15], v[24:25], s[34:35], v[26:27]
	v_fma_f64 v[24:25], v[24:25], s[26:27], v[36:37]
	v_fma_f64 v[6:7], v[18:19], s[20:21], -v[6:7]
	v_fma_f64 v[18:19], v[18:19], s[30:31], -v[30:31]
	v_fma_f64 v[26:27], v[62:63], s[24:25], v[12:13]
	v_fma_f64 v[10:11], v[62:63], s[24:25], v[8:9]
	v_fma_f64 v[8:9], v[38:39], s[16:17], -v[36:37]
	v_fma_f64 v[20:21], v[62:63], s[24:25], v[20:21]
	v_add_f64_e32 v[16:17], v[16:17], v[66:67]
	v_add_f64_e32 v[68:69], v[4:5], v[66:67]
	v_fma_f64 v[34:35], v[64:65], s[24:25], v[14:15]
	v_fma_f64 v[24:25], v[64:65], s[24:25], v[24:25]
	v_add_f64_e32 v[70:71], v[6:7], v[22:23]
	v_add_f64_e32 v[18:19], v[18:19], v[22:23]
	v_fma_f64 v[8:9], v[64:65], s[24:25], v[8:9]
	v_add_f64_e32 v[12:13], v[34:35], v[16:17]
	v_add_f64_e64 v[16:17], v[16:17], -v[34:35]
	v_add_f64_e32 v[6:7], v[10:11], v[70:71]
	v_add_f64_e64 v[14:15], v[18:19], -v[26:27]
	v_add_f64_e32 v[18:19], v[26:27], v[18:19]
	v_fma_f64 v[26:27], v[56:57], s[12:13], v[28:29]
	v_fma_f64 v[28:29], v[60:61], s[12:13], v[30:31]
	v_add_f64_e64 v[4:5], v[68:69], -v[8:9]
	v_add_f64_e32 v[8:9], v[8:9], v[68:69]
	v_add_f64_e64 v[10:11], v[70:71], -v[10:11]
	v_add_f64_e32 v[26:27], v[26:27], v[66:67]
	v_add_f64_e32 v[22:23], v[28:29], v[22:23]
	s_delay_alu instid0(VALU_DEP_2) | instskip(NEXT) | instid1(VALU_DEP_2)
	v_add_f64_e32 v[56:57], v[24:25], v[26:27]
	v_add_f64_e64 v[58:59], v[22:23], -v[20:21]
	v_add_f64_e64 v[60:61], v[26:27], -v[24:25]
	v_add_f64_e32 v[62:63], v[20:21], v[22:23]
	ds_store_b128 v197, v[0:3]
	ds_store_b128 v197, v[56:59] offset:256
	ds_store_b128 v197, v[12:15] offset:512
	;; [unrolled: 1-line block ×6, first 2 shown]
	global_wb scope:SCOPE_SE
	s_wait_dscnt 0x0
	s_barrier_signal -1
	s_barrier_wait -1
	global_inv scope:SCOPE_SE
	ds_load_b128 v[0:3], v167 offset:1792
	ds_load_b128 v[4:7], v167 offset:2688
	s_wait_dscnt 0x1
	v_mul_f64_e32 v[8:9], v[82:83], v[2:3]
	s_delay_alu instid0(VALU_DEP_1) | instskip(SKIP_1) | instid1(VALU_DEP_1)
	v_fma_f64 v[20:21], v[80:81], v[0:1], v[8:9]
	v_mul_f64_e32 v[0:1], v[82:83], v[0:1]
	v_fma_f64 v[22:23], v[80:81], v[2:3], -v[0:1]
	ds_load_b128 v[0:3], v167 offset:3584
	ds_load_b128 v[8:11], v167 offset:4480
	s_wait_dscnt 0x1
	v_mul_f64_e32 v[12:13], v[126:127], v[2:3]
	s_delay_alu instid0(VALU_DEP_1) | instskip(SKIP_1) | instid1(VALU_DEP_1)
	v_fma_f64 v[24:25], v[124:125], v[0:1], v[12:13]
	v_mul_f64_e32 v[0:1], v[126:127], v[0:1]
	v_fma_f64 v[26:27], v[124:125], v[2:3], -v[0:1]
	ds_load_b128 v[0:3], v167 offset:10752
	ds_load_b128 v[12:15], v167 offset:11648
	s_wait_dscnt 0x1
	v_mul_f64_e32 v[16:17], v[146:147], v[2:3]
	s_delay_alu instid0(VALU_DEP_1) | instskip(SKIP_1) | instid1(VALU_DEP_2)
	v_fma_f64 v[28:29], v[144:145], v[0:1], v[16:17]
	v_mul_f64_e32 v[0:1], v[146:147], v[0:1]
	v_add_f64_e32 v[36:37], v[20:21], v[28:29]
	s_delay_alu instid0(VALU_DEP_2)
	v_fma_f64 v[30:31], v[144:145], v[2:3], -v[0:1]
	ds_load_b128 v[0:3], v167 offset:8960
	ds_load_b128 v[16:19], v167 offset:9856
	s_wait_dscnt 0x1
	v_mul_f64_e32 v[32:33], v[142:143], v[2:3]
	v_add_f64_e32 v[84:85], v[22:23], v[30:31]
	s_delay_alu instid0(VALU_DEP_2) | instskip(SKIP_1) | instid1(VALU_DEP_1)
	v_fma_f64 v[32:33], v[140:141], v[0:1], v[32:33]
	v_mul_f64_e32 v[0:1], v[142:143], v[0:1]
	v_fma_f64 v[34:35], v[140:141], v[2:3], -v[0:1]
	v_mul_f64_e32 v[0:1], v[154:155], v[6:7]
	s_delay_alu instid0(VALU_DEP_2) | instskip(NEXT) | instid1(VALU_DEP_2)
	v_add_f64_e32 v[86:87], v[26:27], v[34:35]
	v_fma_f64 v[62:63], v[152:153], v[4:5], v[0:1]
	v_mul_f64_e32 v[0:1], v[154:155], v[4:5]
	s_delay_alu instid0(VALU_DEP_1) | instskip(SKIP_1) | instid1(VALU_DEP_1)
	v_fma_f64 v[60:61], v[152:153], v[6:7], -v[0:1]
	v_mul_f64_e32 v[0:1], v[150:151], v[10:11]
	v_fma_f64 v[66:67], v[148:149], v[8:9], v[0:1]
	v_mul_f64_e32 v[0:1], v[150:151], v[8:9]
	s_delay_alu instid0(VALU_DEP_1) | instskip(SKIP_1) | instid1(VALU_DEP_1)
	v_fma_f64 v[64:65], v[148:149], v[10:11], -v[0:1]
	v_mul_f64_e32 v[0:1], v[162:163], v[14:15]
	v_fma_f64 v[70:71], v[160:161], v[12:13], v[0:1]
	v_mul_f64_e32 v[0:1], v[162:163], v[12:13]
	s_delay_alu instid0(VALU_DEP_2) | instskip(NEXT) | instid1(VALU_DEP_2)
	v_add_f64_e32 v[92:93], v[62:63], v[70:71]
	v_fma_f64 v[68:69], v[160:161], v[14:15], -v[0:1]
	s_wait_dscnt 0x0
	v_mul_f64_e32 v[0:1], v[158:159], v[18:19]
	s_delay_alu instid0(VALU_DEP_2) | instskip(NEXT) | instid1(VALU_DEP_2)
	v_add_f64_e32 v[100:101], v[60:61], v[68:69]
	v_fma_f64 v[74:75], v[156:157], v[16:17], v[0:1]
	v_mul_f64_e32 v[0:1], v[158:159], v[16:17]
	s_delay_alu instid0(VALU_DEP_2) | instskip(NEXT) | instid1(VALU_DEP_2)
	v_add_f64_e32 v[94:95], v[66:67], v[74:75]
	v_fma_f64 v[72:73], v[156:157], v[18:19], -v[0:1]
	ds_load_b128 v[0:3], v167 offset:5376
	ds_load_b128 v[4:7], v167 offset:6272
	s_wait_dscnt 0x1
	v_mul_f64_e32 v[8:9], v[130:131], v[2:3]
	v_add_f64_e32 v[102:103], v[64:65], v[72:73]
	s_delay_alu instid0(VALU_DEP_2) | instskip(SKIP_1) | instid1(VALU_DEP_1)
	v_fma_f64 v[12:13], v[128:129], v[0:1], v[8:9]
	v_mul_f64_e32 v[0:1], v[130:131], v[0:1]
	v_fma_f64 v[14:15], v[128:129], v[2:3], -v[0:1]
	ds_load_b128 v[0:3], v167 offset:7168
	ds_load_b128 v[8:11], v167 offset:8064
	s_wait_dscnt 0x1
	v_mul_f64_e32 v[16:17], v[122:123], v[2:3]
	s_delay_alu instid0(VALU_DEP_1) | instskip(SKIP_1) | instid1(VALU_DEP_2)
	v_fma_f64 v[16:17], v[120:121], v[0:1], v[16:17]
	v_mul_f64_e32 v[0:1], v[122:123], v[0:1]
	v_add_f64_e32 v[38:39], v[12:13], v[16:17]
	s_delay_alu instid0(VALU_DEP_2) | instskip(SKIP_3) | instid1(VALU_DEP_4)
	v_fma_f64 v[18:19], v[120:121], v[2:3], -v[0:1]
	v_mul_f64_e32 v[0:1], v[138:139], v[6:7]
	v_add_f64_e64 v[12:13], v[16:17], -v[12:13]
	v_add_f64_e64 v[16:17], v[20:21], -v[28:29]
	v_add_f64_e32 v[88:89], v[14:15], v[18:19]
	s_delay_alu instid0(VALU_DEP_4) | instskip(SKIP_3) | instid1(VALU_DEP_3)
	v_fma_f64 v[78:79], v[136:137], v[4:5], v[0:1]
	v_mul_f64_e32 v[0:1], v[138:139], v[4:5]
	v_add_f64_e64 v[14:15], v[18:19], -v[14:15]
	v_add_f64_e64 v[18:19], v[22:23], -v[30:31]
	v_fma_f64 v[76:77], v[136:137], v[6:7], -v[0:1]
	s_wait_dscnt 0x0
	v_mul_f64_e32 v[0:1], v[134:135], v[10:11]
	s_delay_alu instid0(VALU_DEP_1) | instskip(SKIP_2) | instid1(VALU_DEP_3)
	v_fma_f64 v[82:83], v[132:133], v[8:9], v[0:1]
	v_mul_f64_e32 v[0:1], v[134:135], v[8:9]
	v_add_f64_e32 v[8:9], v[24:25], v[32:33]
	v_add_f64_e32 v[96:97], v[78:79], v[82:83]
	s_delay_alu instid0(VALU_DEP_3) | instskip(NEXT) | instid1(VALU_DEP_3)
	v_fma_f64 v[80:81], v[132:133], v[10:11], -v[0:1]
	v_add_f64_e32 v[0:1], v[8:9], v[36:37]
	v_add_f64_e64 v[28:29], v[38:39], -v[8:9]
	v_add_f64_e64 v[30:31], v[8:9], -v[36:37]
	;; [unrolled: 1-line block ×3, first 2 shown]
	v_add_f64_e32 v[104:105], v[76:77], v[80:81]
	v_add_f64_e32 v[10:11], v[38:39], v[0:1]
	;; [unrolled: 1-line block ×3, first 2 shown]
	v_add_f64_e64 v[38:39], v[84:85], -v[88:89]
	s_delay_alu instid0(VALU_DEP_2)
	v_add_f64_e32 v[90:91], v[88:89], v[0:1]
	ds_load_b128 v[0:3], v167
	ds_load_b128 v[4:7], v167 offset:896
	s_wait_dscnt 0x1
	v_add_f64_e32 v[56:57], v[0:1], v[10:11]
	v_add_f64_e32 v[0:1], v[94:95], v[92:93]
	;; [unrolled: 1-line block ×3, first 2 shown]
	s_delay_alu instid0(VALU_DEP_3) | instskip(NEXT) | instid1(VALU_DEP_3)
	v_fma_f64 v[110:111], v[10:11], s[18:19], v[56:57]
	v_add_f64_e32 v[98:99], v[96:97], v[0:1]
	v_add_f64_e32 v[0:1], v[102:103], v[100:101]
	s_delay_alu instid0(VALU_DEP_4) | instskip(NEXT) | instid1(VALU_DEP_2)
	v_fma_f64 v[90:91], v[90:91], s[18:19], v[58:59]
	v_add_f64_e32 v[106:107], v[104:105], v[0:1]
	s_wait_dscnt 0x0
	s_delay_alu instid0(VALU_DEP_4)
	v_add_f64_e32 v[0:1], v[4:5], v[98:99]
	v_add_f64_e64 v[4:5], v[24:25], -v[32:33]
	v_add_f64_e64 v[32:33], v[88:89], -v[86:87]
	v_add_f64_e64 v[88:89], v[18:19], -v[14:15]
	v_add_f64_e32 v[2:3], v[6:7], v[106:107]
	v_add_f64_e64 v[6:7], v[26:27], -v[34:35]
	v_add_f64_e64 v[20:21], v[12:13], -v[4:5]
	v_add_f64_e64 v[22:23], v[4:5], -v[16:17]
	;; [unrolled: 4-line block ×3, first 2 shown]
	v_mul_f64_e32 v[20:21], s[22:23], v[20:21]
	v_add_f64_e64 v[26:27], v[6:7], -v[18:19]
	v_add_f64_e32 v[86:87], v[4:5], v[16:17]
	v_add_f64_e32 v[6:7], v[14:15], v[6:7]
	v_mul_f64_e32 v[12:13], s[14:15], v[22:23]
	v_mul_f64_e32 v[4:5], s[12:13], v[28:29]
	;; [unrolled: 1-line block ×3, first 2 shown]
	v_fma_f64 v[8:9], v[22:23], s[16:17], -v[20:21]
	v_mul_f64_e32 v[14:15], s[14:15], v[26:27]
	v_mul_f64_e32 v[22:23], s[28:29], v[36:37]
	v_add_f64_e32 v[108:109], v[6:7], v[18:19]
	v_mul_f64_e32 v[6:7], s[12:13], v[32:33]
	v_fma_f64 v[20:21], v[84:85], s[26:27], v[20:21]
	v_fma_f64 v[12:13], v[84:85], s[34:35], v[12:13]
	v_fma_f64 v[4:5], v[30:31], s[20:21], -v[4:5]
	v_fma_f64 v[10:11], v[86:87], s[24:25], v[8:9]
	v_fma_f64 v[8:9], v[26:27], s[16:17], -v[24:25]
	v_mul_f64_e32 v[26:27], s[28:29], v[38:39]
	v_fma_f64 v[16:17], v[30:31], s[30:31], -v[22:23]
	v_fma_f64 v[24:25], v[88:89], s[26:27], v[24:25]
	v_fma_f64 v[22:23], v[28:29], s[12:13], v[22:23]
	v_fma_f64 v[6:7], v[34:35], s[20:21], -v[6:7]
	v_fma_f64 v[20:21], v[86:87], s[24:25], v[20:21]
	v_fma_f64 v[14:15], v[88:89], s[34:35], v[14:15]
	;; [unrolled: 1-line block ×3, first 2 shown]
	v_add_f64_e64 v[28:29], v[80:81], -v[76:77]
	v_add_f64_e64 v[76:77], v[96:97], -v[94:95]
	v_fma_f64 v[80:81], v[98:99], s[18:19], v[0:1]
	v_add_f64_e32 v[112:113], v[4:5], v[110:111]
	v_fma_f64 v[8:9], v[108:109], s[24:25], v[8:9]
	v_fma_f64 v[18:19], v[34:35], s[30:31], -v[26:27]
	v_fma_f64 v[26:27], v[32:33], s[12:13], v[26:27]
	v_fma_f64 v[24:25], v[108:109], s[24:25], v[24:25]
	v_add_f64_e32 v[22:23], v[22:23], v[110:111]
	v_add_f64_e32 v[114:115], v[6:7], v[90:91]
	;; [unrolled: 1-line block ×3, first 2 shown]
	v_fma_f64 v[34:35], v[108:109], s[24:25], v[14:15]
	v_add_f64_e64 v[4:5], v[112:113], -v[8:9]
	v_add_f64_e32 v[18:19], v[18:19], v[90:91]
	v_add_f64_e32 v[26:27], v[26:27], v[90:91]
	;; [unrolled: 1-line block ×4, first 2 shown]
	v_add_f64_e64 v[88:89], v[22:23], -v[24:25]
	v_add_f64_e64 v[22:23], v[82:83], -v[78:79]
	;; [unrolled: 1-line block ×3, first 2 shown]
	v_add_f64_e32 v[12:13], v[34:35], v[16:17]
	v_add_f64_e64 v[16:17], v[16:17], -v[34:35]
	v_add_f64_e64 v[78:79], v[104:105], -v[102:103]
	v_add_f64_e64 v[70:71], v[102:103], -v[100:101]
	v_fma_f64 v[82:83], v[106:107], s[18:19], v[2:3]
	v_add_f64_e32 v[6:7], v[10:11], v[114:115]
	v_add_f64_e64 v[10:11], v[114:115], -v[10:11]
	v_add_f64_e64 v[14:15], v[18:19], -v[30:31]
	;; [unrolled: 1-line block ×3, first 2 shown]
	v_add_f64_e32 v[90:91], v[20:21], v[26:27]
	v_add_f64_e64 v[20:21], v[66:67], -v[74:75]
	v_add_f64_e64 v[26:27], v[64:65], -v[72:73]
	v_add_f64_e32 v[18:19], v[30:31], v[18:19]
	v_add_f64_e64 v[30:31], v[60:61], -v[68:69]
	v_add_f64_e64 v[68:69], v[94:95], -v[92:93]
	v_mul_f64_e32 v[60:61], s[12:13], v[76:77]
	v_mul_f64_e32 v[62:63], s[12:13], v[78:79]
	v_add_f64_e64 v[32:33], v[22:23], -v[20:21]
	v_add_f64_e64 v[34:35], v[20:21], -v[24:25]
	v_add_f64_e32 v[20:21], v[22:23], v[20:21]
	v_add_f64_e64 v[36:37], v[28:29], -v[26:27]
	v_add_f64_e64 v[38:39], v[26:27], -v[30:31]
	v_add_f64_e32 v[26:27], v[28:29], v[26:27]
	v_fma_f64 v[60:61], v[68:69], s[20:21], -v[60:61]
	v_fma_f64 v[62:63], v[70:71], s[20:21], -v[62:63]
	v_add_f64_e64 v[22:23], v[24:25], -v[22:23]
	v_mul_f64_e32 v[32:33], s[22:23], v[32:33]
	v_add_f64_e32 v[20:21], v[20:21], v[24:25]
	v_mul_f64_e32 v[36:37], s[22:23], v[36:37]
	v_add_f64_e64 v[24:25], v[30:31], -v[28:29]
	v_add_f64_e32 v[26:27], v[26:27], v[30:31]
	v_add_f64_e32 v[72:73], v[60:61], v[80:81]
	v_add_f64_e32 v[74:75], v[62:63], v[82:83]
	v_mul_f64_e32 v[28:29], s[14:15], v[34:35]
	v_mul_f64_e32 v[30:31], s[14:15], v[38:39]
	v_fma_f64 v[64:65], v[34:35], s[16:17], -v[32:33]
	s_delay_alu instid0(VALU_DEP_3) | instskip(NEXT) | instid1(VALU_DEP_3)
	v_fma_f64 v[28:29], v[22:23], s[34:35], v[28:29]
	v_fma_f64 v[30:31], v[24:25], s[34:35], v[30:31]
	;; [unrolled: 1-line block ×5, first 2 shown]
	v_fma_f64 v[64:65], v[38:39], s[16:17], -v[36:37]
	v_fma_f64 v[28:29], v[20:21], s[24:25], v[28:29]
	v_fma_f64 v[30:31], v[26:27], s[24:25], v[30:31]
	;; [unrolled: 1-line block ×4, first 2 shown]
	v_add_f64_e32 v[62:63], v[66:67], v[74:75]
	v_fma_f64 v[64:65], v[26:27], s[24:25], v[64:65]
	v_add_f64_e64 v[66:67], v[74:75], -v[66:67]
	v_add_f64_e64 v[74:75], v[100:101], -v[104:105]
	s_delay_alu instid0(VALU_DEP_3) | instskip(SKIP_2) | instid1(VALU_DEP_4)
	v_add_f64_e64 v[60:61], v[72:73], -v[64:65]
	v_add_f64_e32 v[64:65], v[64:65], v[72:73]
	v_add_f64_e64 v[72:73], v[92:93], -v[96:97]
	v_mul_f64_e32 v[38:39], s[28:29], v[74:75]
	s_delay_alu instid0(VALU_DEP_2) | instskip(NEXT) | instid1(VALU_DEP_2)
	v_mul_f64_e32 v[34:35], s[28:29], v[72:73]
	v_fma_f64 v[70:71], v[70:71], s[30:31], -v[38:39]
	s_delay_alu instid0(VALU_DEP_2) | instskip(NEXT) | instid1(VALU_DEP_2)
	v_fma_f64 v[68:69], v[68:69], s[30:31], -v[34:35]
	v_add_f64_e32 v[74:75], v[70:71], v[82:83]
	s_delay_alu instid0(VALU_DEP_2) | instskip(NEXT) | instid1(VALU_DEP_2)
	v_add_f64_e32 v[72:73], v[68:69], v[80:81]
	v_add_f64_e64 v[70:71], v[74:75], -v[28:29]
	v_add_f64_e32 v[74:75], v[28:29], v[74:75]
	v_fma_f64 v[28:29], v[76:77], s[12:13], v[34:35]
	s_delay_alu instid0(VALU_DEP_4) | instskip(SKIP_2) | instid1(VALU_DEP_4)
	v_add_f64_e32 v[68:69], v[30:31], v[72:73]
	v_add_f64_e64 v[72:73], v[72:73], -v[30:31]
	v_fma_f64 v[30:31], v[78:79], s[12:13], v[38:39]
	v_add_f64_e32 v[24:25], v[28:29], v[80:81]
	s_delay_alu instid0(VALU_DEP_2) | instskip(NEXT) | instid1(VALU_DEP_2)
	v_add_f64_e32 v[26:27], v[30:31], v[82:83]
	v_add_f64_e32 v[76:77], v[22:23], v[24:25]
	v_add_f64_e64 v[80:81], v[24:25], -v[22:23]
	s_delay_alu instid0(VALU_DEP_3)
	v_add_f64_e64 v[78:79], v[26:27], -v[20:21]
	v_add_f64_e32 v[82:83], v[20:21], v[26:27]
	ds_store_b128 v167, v[56:59]
	ds_store_b128 v167, v[0:3] offset:896
	ds_store_b128 v167, v[84:87] offset:1792
	;; [unrolled: 1-line block ×13, first 2 shown]
	global_wb scope:SCOPE_SE
	s_wait_dscnt 0x0
	s_barrier_signal -1
	s_barrier_wait -1
	global_inv scope:SCOPE_SE
	ds_load_b128 v[0:3], v167
	ds_load_b128 v[4:7], v167 offset:896
	scratch_load_b128 v[10:13], off, off offset:28 th:TH_LOAD_LU ; 16-byte Folded Reload
	s_wait_loadcnt_dscnt 0x1
	v_mul_f64_e32 v[8:9], v[12:13], v[2:3]
	s_delay_alu instid0(VALU_DEP_1) | instskip(SKIP_1) | instid1(VALU_DEP_1)
	v_fma_f64 v[16:17], v[10:11], v[0:1], v[8:9]
	v_mul_f64_e32 v[0:1], v[12:13], v[0:1]
	v_fma_f64 v[18:19], v[10:11], v[2:3], -v[0:1]
	ds_load_b128 v[0:3], v167 offset:6272
	ds_load_b128 v[8:11], v167 offset:5376
	s_wait_dscnt 0x1
	v_mul_f64_e32 v[12:13], v[195:196], v[2:3]
	s_delay_alu instid0(VALU_DEP_1) | instskip(SKIP_2) | instid1(VALU_DEP_1)
	v_fma_f64 v[20:21], v[193:194], v[0:1], v[12:13]
	scratch_load_b128 v[12:15], off, off offset:60 th:TH_LOAD_LU ; 16-byte Folded Reload
	v_mul_f64_e32 v[0:1], v[195:196], v[0:1]
	v_fma_f64 v[22:23], v[193:194], v[2:3], -v[0:1]
	s_wait_loadcnt 0x0
	v_mul_f64_e32 v[0:1], v[14:15], v[6:7]
	s_delay_alu instid0(VALU_DEP_1) | instskip(SKIP_1) | instid1(VALU_DEP_1)
	v_fma_f64 v[24:25], v[12:13], v[4:5], v[0:1]
	v_mul_f64_e32 v[0:1], v[14:15], v[4:5]
	v_fma_f64 v[26:27], v[12:13], v[6:7], -v[0:1]
	ds_load_b128 v[0:3], v167 offset:7168
	ds_load_b128 v[4:7], v167 offset:8064
	scratch_load_b128 v[30:33], off, off offset:12 th:TH_LOAD_LU ; 16-byte Folded Reload
	s_wait_loadcnt_dscnt 0x1
	v_mul_f64_e32 v[12:13], v[32:33], v[2:3]
	s_delay_alu instid0(VALU_DEP_1) | instskip(SKIP_1) | instid1(VALU_DEP_1)
	v_fma_f64 v[28:29], v[30:31], v[0:1], v[12:13]
	v_mul_f64_e32 v[0:1], v[32:33], v[0:1]
	v_fma_f64 v[30:31], v[30:31], v[2:3], -v[0:1]
	ds_load_b128 v[0:3], v167 offset:1792
	ds_load_b128 v[12:15], v167 offset:2688
	scratch_load_b128 v[56:59], off, off offset:44 th:TH_LOAD_LU ; 16-byte Folded Reload
	s_wait_dscnt 0x1
	v_mul_f64_e32 v[32:33], v[179:180], v[2:3]
	s_delay_alu instid0(VALU_DEP_1) | instskip(SKIP_1) | instid1(VALU_DEP_1)
	v_fma_f64 v[32:33], v[177:178], v[0:1], v[32:33]
	v_mul_f64_e32 v[0:1], v[179:180], v[0:1]
	v_fma_f64 v[34:35], v[177:178], v[2:3], -v[0:1]
	s_wait_loadcnt 0x0
	v_mul_f64_e32 v[0:1], v[58:59], v[6:7]
	s_delay_alu instid0(VALU_DEP_1) | instskip(SKIP_1) | instid1(VALU_DEP_1)
	v_fma_f64 v[36:37], v[56:57], v[4:5], v[0:1]
	v_mul_f64_e32 v[0:1], v[58:59], v[4:5]
	v_fma_f64 v[38:39], v[56:57], v[6:7], -v[0:1]
	s_wait_dscnt 0x0
	v_mul_f64_e32 v[0:1], v[187:188], v[14:15]
	s_delay_alu instid0(VALU_DEP_1) | instskip(SKIP_1) | instid1(VALU_DEP_1)
	v_fma_f64 v[56:57], v[185:186], v[12:13], v[0:1]
	v_mul_f64_e32 v[0:1], v[187:188], v[12:13]
	v_fma_f64 v[58:59], v[185:186], v[14:15], -v[0:1]
	ds_load_b128 v[0:3], v167 offset:8960
	ds_load_b128 v[4:7], v167 offset:9856
	s_wait_dscnt 0x1
	v_mul_f64_e32 v[12:13], v[42:43], v[2:3]
	s_delay_alu instid0(VALU_DEP_1) | instskip(SKIP_1) | instid1(VALU_DEP_1)
	v_fma_f64 v[60:61], v[40:41], v[0:1], v[12:13]
	v_mul_f64_e32 v[0:1], v[42:43], v[0:1]
	v_fma_f64 v[40:41], v[40:41], v[2:3], -v[0:1]
	ds_load_b128 v[0:3], v167 offset:3584
	ds_load_b128 v[12:15], v167 offset:4480
	s_wait_dscnt 0x1
	v_mul_f64_e32 v[42:43], v[46:47], v[2:3]
	s_delay_alu instid0(VALU_DEP_1) | instskip(SKIP_1) | instid1(VALU_DEP_1)
	v_fma_f64 v[42:43], v[44:45], v[0:1], v[42:43]
	v_mul_f64_e32 v[0:1], v[46:47], v[0:1]
	v_fma_f64 v[44:45], v[44:45], v[2:3], -v[0:1]
	v_mul_f64_e32 v[0:1], v[183:184], v[6:7]
	s_delay_alu instid0(VALU_DEP_1) | instskip(SKIP_1) | instid1(VALU_DEP_1)
	v_fma_f64 v[46:47], v[181:182], v[4:5], v[0:1]
	v_mul_f64_e32 v[0:1], v[183:184], v[4:5]
	v_fma_f64 v[62:63], v[181:182], v[6:7], -v[0:1]
	s_wait_dscnt 0x0
	v_mul_f64_e32 v[0:1], v[175:176], v[14:15]
	s_delay_alu instid0(VALU_DEP_1) | instskip(SKIP_1) | instid1(VALU_DEP_1)
	v_fma_f64 v[64:65], v[173:174], v[12:13], v[0:1]
	v_mul_f64_e32 v[0:1], v[175:176], v[12:13]
	v_fma_f64 v[66:67], v[173:174], v[14:15], -v[0:1]
	ds_load_b128 v[0:3], v167 offset:10752
	ds_load_b128 v[4:7], v167 offset:11648
	s_wait_dscnt 0x1
	v_mul_f64_e32 v[12:13], v[50:51], v[2:3]
	s_delay_alu instid0(VALU_DEP_1) | instskip(SKIP_1) | instid1(VALU_DEP_1)
	v_fma_f64 v[68:69], v[48:49], v[0:1], v[12:13]
	v_mul_f64_e32 v[0:1], v[50:51], v[0:1]
	v_fma_f64 v[48:49], v[48:49], v[2:3], -v[0:1]
	v_mul_f64_e32 v[0:1], v[191:192], v[10:11]
	s_delay_alu instid0(VALU_DEP_1) | instskip(SKIP_1) | instid1(VALU_DEP_1)
	v_fma_f64 v[50:51], v[189:190], v[8:9], v[0:1]
	v_mul_f64_e32 v[0:1], v[191:192], v[8:9]
	v_fma_f64 v[70:71], v[189:190], v[10:11], -v[0:1]
	s_wait_dscnt 0x0
	v_mul_f64_e32 v[0:1], v[54:55], v[6:7]
	s_delay_alu instid0(VALU_DEP_1) | instskip(SKIP_1) | instid1(VALU_DEP_1)
	v_fma_f64 v[72:73], v[52:53], v[4:5], v[0:1]
	v_mul_f64_e32 v[0:1], v[54:55], v[4:5]
	v_fma_f64 v[52:53], v[52:53], v[6:7], -v[0:1]
	scratch_load_b64 v[1:2], off, off th:TH_LOAD_LU ; 8-byte Folded Reload
	v_mad_co_u64_u32 v[6:7], null, s4, v165, 0
	s_delay_alu instid0(VALU_DEP_1) | instskip(SKIP_2) | instid1(VALU_DEP_1)
	v_mad_co_u64_u32 v[7:8], null, s5, v165, v[7:8]
	s_wait_loadcnt 0x0
	v_mad_co_u64_u32 v[4:5], null, s6, v1, 0
	v_mov_b32_e32 v0, v5
	s_delay_alu instid0(VALU_DEP_1)
	v_mad_co_u64_u32 v[0:1], null, s7, v1, v[0:1]
	s_mov_b32 s6, 0xa72f0539
	s_mov_b32 s7, 0x3f54e5e0
	s_wait_alu 0xfffe
	v_mul_f64_e32 v[2:3], s[6:7], v[18:19]
	v_mul_f64_e32 v[12:13], s[6:7], v[42:43]
	;; [unrolled: 1-line block ×3, first 2 shown]
	s_delay_alu instid0(VALU_DEP_4) | instskip(SKIP_3) | instid1(VALU_DEP_4)
	v_mov_b32_e32 v5, v0
	v_mul_f64_e32 v[0:1], s[6:7], v[16:17]
	v_mul_f64_e32 v[16:17], s[6:7], v[46:47]
	;; [unrolled: 1-line block ×3, first 2 shown]
	v_lshlrev_b64_e32 v[4:5], 4, v[4:5]
	s_delay_alu instid0(VALU_DEP_1) | instskip(SKIP_1) | instid1(VALU_DEP_2)
	v_add_co_u32 v8, vcc_lo, s0, v4
	s_wait_alu 0xfffd
	v_add_co_ci_u32_e32 v9, vcc_lo, s1, v5, vcc_lo
	v_lshlrev_b64_e32 v[4:5], 4, v[6:7]
	s_mul_u64 s[0:1], s[4:5], 0x1880
	s_delay_alu instid0(VALU_DEP_1) | instskip(SKIP_1) | instid1(VALU_DEP_2)
	v_add_co_u32 v4, vcc_lo, v8, v4
	s_wait_alu 0xfffd
	v_add_co_ci_u32_e32 v5, vcc_lo, v9, v5, vcc_lo
	global_store_b128 v[4:5], v[0:3], off
	v_mul_f64_e32 v[0:1], s[6:7], v[20:21]
	v_mul_f64_e32 v[2:3], s[6:7], v[22:23]
	s_wait_alu 0xfffe
	v_add_co_u32 v4, vcc_lo, v4, s0
	s_wait_alu 0xfffd
	v_add_co_ci_u32_e32 v5, vcc_lo, s1, v5, vcc_lo
	v_mul_f64_e32 v[20:21], s[6:7], v[64:65]
	v_mul_f64_e32 v[22:23], s[6:7], v[66:67]
	global_store_b128 v[4:5], v[0:3], off
	v_mul_f64_e32 v[0:1], s[6:7], v[24:25]
	v_mul_f64_e32 v[2:3], s[6:7], v[26:27]
	v_add_co_u32 v4, vcc_lo, v4, s2
	s_wait_alu 0xfffd
	v_add_co_ci_u32_e32 v5, vcc_lo, s3, v5, vcc_lo
	v_mul_f64_e32 v[24:25], s[6:7], v[68:69]
	v_mul_f64_e32 v[26:27], s[6:7], v[48:49]
	global_store_b128 v[4:5], v[0:3], off
	scratch_load_b32 v2, off, off offset:8 th:TH_LOAD_LU ; 4-byte Folded Reload
	s_wait_loadcnt 0x0
	v_mad_co_u64_u32 v[0:1], null, s4, v2, 0
	s_delay_alu instid0(VALU_DEP_1) | instskip(SKIP_2) | instid1(VALU_DEP_3)
	v_mad_co_u64_u32 v[1:2], null, s5, v2, v[1:2]
	v_mul_f64_e32 v[2:3], s[6:7], v[30:31]
	v_mul_f64_e32 v[30:31], s[6:7], v[70:71]
	v_lshlrev_b64_e32 v[0:1], 4, v[0:1]
	s_delay_alu instid0(VALU_DEP_1) | instskip(SKIP_1) | instid1(VALU_DEP_2)
	v_add_co_u32 v6, vcc_lo, v8, v0
	s_wait_alu 0xfffd
	v_add_co_ci_u32_e32 v7, vcc_lo, v9, v1, vcc_lo
	v_mul_f64_e32 v[0:1], s[6:7], v[28:29]
	v_mad_co_u64_u32 v[8:9], null, 0x380, s4, v[4:5]
	v_mul_f64_e32 v[4:5], s[6:7], v[36:37]
	v_mul_f64_e32 v[28:29], s[6:7], v[50:51]
	s_delay_alu instid0(VALU_DEP_3) | instskip(NEXT) | instid1(VALU_DEP_4)
	v_mad_co_u64_u32 v[9:10], null, 0x380, s5, v[9:10]
	v_add_co_u32 v36, vcc_lo, v8, s0
	v_mul_f64_e32 v[10:11], s[6:7], v[40:41]
	s_wait_alu 0xfffd
	s_delay_alu instid0(VALU_DEP_3)
	v_add_co_ci_u32_e32 v37, vcc_lo, s1, v9, vcc_lo
	global_store_b128 v[6:7], v[0:3], off
	v_mul_f64_e32 v[0:1], s[6:7], v[32:33]
	v_mul_f64_e32 v[2:3], s[6:7], v[34:35]
	;; [unrolled: 1-line block ×3, first 2 shown]
	v_add_co_u32 v38, vcc_lo, v36, s2
	s_wait_alu 0xfffd
	v_add_co_ci_u32_e32 v39, vcc_lo, s3, v37, vcc_lo
	v_mul_f64_e32 v[32:33], s[6:7], v[72:73]
	v_mul_f64_e32 v[34:35], s[6:7], v[52:53]
	v_add_co_u32 v40, vcc_lo, v38, s0
	s_wait_alu 0xfffd
	v_add_co_ci_u32_e32 v41, vcc_lo, s1, v39, vcc_lo
	s_delay_alu instid0(VALU_DEP_2) | instskip(SKIP_1) | instid1(VALU_DEP_2)
	v_add_co_u32 v42, vcc_lo, v40, s2
	s_wait_alu 0xfffd
	v_add_co_ci_u32_e32 v43, vcc_lo, s3, v41, vcc_lo
	global_store_b128 v[8:9], v[0:3], off
	v_mul_f64_e32 v[0:1], s[6:7], v[56:57]
	v_mul_f64_e32 v[2:3], s[6:7], v[58:59]
	;; [unrolled: 1-line block ×3, first 2 shown]
	global_store_b128 v[36:37], v[4:7], off
	v_add_co_u32 v4, vcc_lo, v42, s0
	s_wait_alu 0xfffd
	v_add_co_ci_u32_e32 v5, vcc_lo, s1, v43, vcc_lo
	s_delay_alu instid0(VALU_DEP_2) | instskip(SKIP_1) | instid1(VALU_DEP_2)
	v_add_co_u32 v6, vcc_lo, v4, s2
	s_wait_alu 0xfffd
	v_add_co_ci_u32_e32 v7, vcc_lo, s3, v5, vcc_lo
	s_delay_alu instid0(VALU_DEP_2) | instskip(SKIP_1) | instid1(VALU_DEP_2)
	v_add_co_u32 v36, vcc_lo, v6, s0
	s_wait_alu 0xfffd
	v_add_co_ci_u32_e32 v37, vcc_lo, s1, v7, vcc_lo
	global_store_b128 v[38:39], v[0:3], off
	v_add_co_u32 v0, vcc_lo, v36, s2
	s_wait_alu 0xfffd
	v_add_co_ci_u32_e32 v1, vcc_lo, s3, v37, vcc_lo
	s_delay_alu instid0(VALU_DEP_2) | instskip(SKIP_1) | instid1(VALU_DEP_2)
	v_add_co_u32 v2, vcc_lo, v0, s0
	s_wait_alu 0xfffd
	v_add_co_ci_u32_e32 v3, vcc_lo, s1, v1, vcc_lo
	global_store_b128 v[40:41], v[8:11], off
	global_store_b128 v[42:43], v[12:15], off
	;; [unrolled: 1-line block ×7, first 2 shown]
.LBB0_2:
	s_nop 0
	s_sendmsg sendmsg(MSG_DEALLOC_VGPRS)
	s_endpgm
	.section	.rodata,"a",@progbits
	.p2align	6, 0x0
	.amdhsa_kernel bluestein_single_fwd_len784_dim1_dp_op_CI_CI
		.amdhsa_group_segment_fixed_size 12544
		.amdhsa_private_segment_fixed_size 180
		.amdhsa_kernarg_size 104
		.amdhsa_user_sgpr_count 2
		.amdhsa_user_sgpr_dispatch_ptr 0
		.amdhsa_user_sgpr_queue_ptr 0
		.amdhsa_user_sgpr_kernarg_segment_ptr 1
		.amdhsa_user_sgpr_dispatch_id 0
		.amdhsa_user_sgpr_private_segment_size 0
		.amdhsa_wavefront_size32 1
		.amdhsa_uses_dynamic_stack 0
		.amdhsa_enable_private_segment 1
		.amdhsa_system_sgpr_workgroup_id_x 1
		.amdhsa_system_sgpr_workgroup_id_y 0
		.amdhsa_system_sgpr_workgroup_id_z 0
		.amdhsa_system_sgpr_workgroup_info 0
		.amdhsa_system_vgpr_workitem_id 0
		.amdhsa_next_free_vgpr 256
		.amdhsa_next_free_sgpr 36
		.amdhsa_reserve_vcc 1
		.amdhsa_float_round_mode_32 0
		.amdhsa_float_round_mode_16_64 0
		.amdhsa_float_denorm_mode_32 3
		.amdhsa_float_denorm_mode_16_64 3
		.amdhsa_fp16_overflow 0
		.amdhsa_workgroup_processor_mode 1
		.amdhsa_memory_ordered 1
		.amdhsa_forward_progress 0
		.amdhsa_round_robin_scheduling 0
		.amdhsa_exception_fp_ieee_invalid_op 0
		.amdhsa_exception_fp_denorm_src 0
		.amdhsa_exception_fp_ieee_div_zero 0
		.amdhsa_exception_fp_ieee_overflow 0
		.amdhsa_exception_fp_ieee_underflow 0
		.amdhsa_exception_fp_ieee_inexact 0
		.amdhsa_exception_int_div_zero 0
	.end_amdhsa_kernel
	.text
.Lfunc_end0:
	.size	bluestein_single_fwd_len784_dim1_dp_op_CI_CI, .Lfunc_end0-bluestein_single_fwd_len784_dim1_dp_op_CI_CI
                                        ; -- End function
	.section	.AMDGPU.csdata,"",@progbits
; Kernel info:
; codeLenInByte = 18120
; NumSgprs: 38
; NumVgprs: 256
; ScratchSize: 180
; MemoryBound: 0
; FloatMode: 240
; IeeeMode: 1
; LDSByteSize: 12544 bytes/workgroup (compile time only)
; SGPRBlocks: 4
; VGPRBlocks: 31
; NumSGPRsForWavesPerEU: 38
; NumVGPRsForWavesPerEU: 256
; Occupancy: 5
; WaveLimiterHint : 1
; COMPUTE_PGM_RSRC2:SCRATCH_EN: 1
; COMPUTE_PGM_RSRC2:USER_SGPR: 2
; COMPUTE_PGM_RSRC2:TRAP_HANDLER: 0
; COMPUTE_PGM_RSRC2:TGID_X_EN: 1
; COMPUTE_PGM_RSRC2:TGID_Y_EN: 0
; COMPUTE_PGM_RSRC2:TGID_Z_EN: 0
; COMPUTE_PGM_RSRC2:TIDIG_COMP_CNT: 0
	.text
	.p2alignl 7, 3214868480
	.fill 96, 4, 3214868480
	.type	__hip_cuid_4d43044ee54c608b,@object ; @__hip_cuid_4d43044ee54c608b
	.section	.bss,"aw",@nobits
	.globl	__hip_cuid_4d43044ee54c608b
__hip_cuid_4d43044ee54c608b:
	.byte	0                               ; 0x0
	.size	__hip_cuid_4d43044ee54c608b, 1

	.ident	"AMD clang version 19.0.0git (https://github.com/RadeonOpenCompute/llvm-project roc-6.4.0 25133 c7fe45cf4b819c5991fe208aaa96edf142730f1d)"
	.section	".note.GNU-stack","",@progbits
	.addrsig
	.addrsig_sym __hip_cuid_4d43044ee54c608b
	.amdgpu_metadata
---
amdhsa.kernels:
  - .args:
      - .actual_access:  read_only
        .address_space:  global
        .offset:         0
        .size:           8
        .value_kind:     global_buffer
      - .actual_access:  read_only
        .address_space:  global
        .offset:         8
        .size:           8
        .value_kind:     global_buffer
      - .actual_access:  read_only
        .address_space:  global
        .offset:         16
        .size:           8
        .value_kind:     global_buffer
      - .actual_access:  read_only
        .address_space:  global
        .offset:         24
        .size:           8
        .value_kind:     global_buffer
      - .actual_access:  read_only
        .address_space:  global
        .offset:         32
        .size:           8
        .value_kind:     global_buffer
      - .offset:         40
        .size:           8
        .value_kind:     by_value
      - .address_space:  global
        .offset:         48
        .size:           8
        .value_kind:     global_buffer
      - .address_space:  global
        .offset:         56
        .size:           8
        .value_kind:     global_buffer
      - .address_space:  global
        .offset:         64
        .size:           8
        .value_kind:     global_buffer
      - .address_space:  global
        .offset:         72
        .size:           8
        .value_kind:     global_buffer
      - .offset:         80
        .size:           4
        .value_kind:     by_value
      - .address_space:  global
        .offset:         88
        .size:           8
        .value_kind:     global_buffer
      - .address_space:  global
        .offset:         96
        .size:           8
        .value_kind:     global_buffer
    .group_segment_fixed_size: 12544
    .kernarg_segment_align: 8
    .kernarg_segment_size: 104
    .language:       OpenCL C
    .language_version:
      - 2
      - 0
    .max_flat_workgroup_size: 56
    .name:           bluestein_single_fwd_len784_dim1_dp_op_CI_CI
    .private_segment_fixed_size: 180
    .sgpr_count:     38
    .sgpr_spill_count: 0
    .symbol:         bluestein_single_fwd_len784_dim1_dp_op_CI_CI.kd
    .uniform_work_group_size: 1
    .uses_dynamic_stack: false
    .vgpr_count:     256
    .vgpr_spill_count: 44
    .wavefront_size: 32
    .workgroup_processor_mode: 1
amdhsa.target:   amdgcn-amd-amdhsa--gfx1201
amdhsa.version:
  - 1
  - 2
...

	.end_amdgpu_metadata
